;; amdgpu-corpus repo=LLNL/RAJAPerf kind=compiled arch=gfx90a opt=O3
	.text
	.amdgcn_target "amdgcn-amd-amdhsa--gfx90a"
	.amdhsa_code_object_version 6
	.section	.text._ZN8rajaperf4apps6edge3dILm256EEEvPdS2_S2_S2_S2_S2_S2_S2_S2_S2_S2_S2_S2_S2_S2_S2_S2_S2_S2_S2_S2_S2_S2_S2_S2_ll,"axG",@progbits,_ZN8rajaperf4apps6edge3dILm256EEEvPdS2_S2_S2_S2_S2_S2_S2_S2_S2_S2_S2_S2_S2_S2_S2_S2_S2_S2_S2_S2_S2_S2_S2_S2_ll,comdat
	.protected	_ZN8rajaperf4apps6edge3dILm256EEEvPdS2_S2_S2_S2_S2_S2_S2_S2_S2_S2_S2_S2_S2_S2_S2_S2_S2_S2_S2_S2_S2_S2_S2_S2_ll ; -- Begin function _ZN8rajaperf4apps6edge3dILm256EEEvPdS2_S2_S2_S2_S2_S2_S2_S2_S2_S2_S2_S2_S2_S2_S2_S2_S2_S2_S2_S2_S2_S2_S2_S2_ll
	.globl	_ZN8rajaperf4apps6edge3dILm256EEEvPdS2_S2_S2_S2_S2_S2_S2_S2_S2_S2_S2_S2_S2_S2_S2_S2_S2_S2_S2_S2_S2_S2_S2_S2_ll
	.p2align	8
	.type	_ZN8rajaperf4apps6edge3dILm256EEEvPdS2_S2_S2_S2_S2_S2_S2_S2_S2_S2_S2_S2_S2_S2_S2_S2_S2_S2_S2_S2_S2_S2_S2_S2_ll,@function
_ZN8rajaperf4apps6edge3dILm256EEEvPdS2_S2_S2_S2_S2_S2_S2_S2_S2_S2_S2_S2_S2_S2_S2_S2_S2_S2_S2_S2_S2_S2_S2_S2_ll: ; @_ZN8rajaperf4apps6edge3dILm256EEEvPdS2_S2_S2_S2_S2_S2_S2_S2_S2_S2_S2_S2_S2_S2_S2_S2_S2_S2_S2_S2_S2_S2_S2_S2_ll
; %bb.0:
	s_load_dwordx4 s[0:3], s[4:5], 0xc0
	s_load_dwordx2 s[8:9], s[4:5], 0xd0
	s_mov_b32 s7, 0
	s_lshl_b64 s[10:11], s[6:7], 8
	s_waitcnt lgkmcnt(0)
	s_add_u32 s2, s2, s10
	s_addc_u32 s3, s3, s11
	v_mov_b32_e32 v1, s3
	v_add_co_u32_e32 v0, vcc, s2, v0
	v_addc_co_u32_e32 v1, vcc, 0, v1, vcc
	v_cmp_gt_i64_e32 vcc, s[8:9], v[0:1]
	s_and_saveexec_b64 s[2:3], vcc
	s_cbranch_execz .LBB0_8
; %bb.1:
	s_load_dwordx16 s[8:23], s[4:5], 0x0
	s_load_dwordx16 s[52:67], s[4:5], 0x40
	s_load_dwordx16 s[36:51], s[4:5], 0x80
	v_lshlrev_b64 v[62:63], 3, v[0:1]
	v_mov_b32_e32 v60, s1
	s_waitcnt lgkmcnt(0)
	v_mov_b32_e32 v1, s11
	v_add_co_u32_e32 v0, vcc, s10, v62
	v_addc_co_u32_e32 v1, vcc, v1, v63, vcc
	v_mov_b32_e32 v3, s13
	v_add_co_u32_e32 v2, vcc, s12, v62
	v_addc_co_u32_e32 v3, vcc, v3, v63, vcc
	;; [unrolled: 3-line block ×18, first 2 shown]
	v_mov_b32_e32 v37, s43
	v_add_co_u32_e32 v36, vcc, s42, v62
	global_load_dwordx2 v[0:1], v[0:1], off
	v_addc_co_u32_e32 v37, vcc, v37, v63, vcc
	global_load_dwordx2 v[8:9], v[8:9], off
	v_mov_b32_e32 v39, s45
	v_add_co_u32_e32 v38, vcc, s44, v62
	global_load_dwordx2 v[2:3], v[2:3], off
	v_addc_co_u32_e32 v39, vcc, v39, v63, vcc
	global_load_dwordx2 v[10:11], v[10:11], off
	;; [unrolled: 5-line block ×3, first 2 shown]
	v_mov_b32_e32 v43, s49
	global_load_dwordx2 v[6:7], v[6:7], off
	v_add_co_u32_e32 v42, vcc, s48, v62
	global_load_dwordx2 v[14:15], v[14:15], off
	v_addc_co_u32_e32 v43, vcc, v43, v63, vcc
	v_mov_b32_e32 v45, s51
	v_add_co_u32_e32 v44, vcc, s50, v62
	global_load_dwordx2 v[16:17], v[16:17], off
	v_addc_co_u32_e32 v45, vcc, v45, v63, vcc
	global_load_dwordx2 v[24:25], v[24:25], off
	v_accvgpr_write_b32 a0, v62
	global_load_dwordx2 v[18:19], v[18:19], off
	s_mov_b32 s2, 0x4ad4b81f
	global_load_dwordx2 v[20:21], v[20:21], off
	v_accvgpr_write_b32 a1, v63
	global_load_dwordx2 v[22:23], v[22:23], off
	s_mov_b32 s16, 0x3fe93cd3
	global_load_dwordx2 v[26:27], v[26:27], off
	s_mov_b32 s17, 0xa2c8198e
	;; [unrolled: 2-line block ×3, first 2 shown]
	global_load_dwordx2 v[30:31], v[30:31], off
	s_nop 0
	global_load_dwordx2 v[46:47], v[34:35], off
	global_load_dwordx2 v[48:49], v[42:43], off
	;; [unrolled: 1-line block ×7, first 2 shown]
	v_add_co_u32_e32 v32, vcc, s0, v62
	v_addc_co_u32_e32 v33, vcc, v60, v63, vcc
	global_load_dwordx2 v[32:33], v[32:33], off
	s_mov_b64 s[0:1], -1
	s_waitcnt vmcnt(22)
	v_add_f64 v[34:35], v[8:9], -v[0:1]
	v_accvgpr_write_b32 a63, v35
	v_accvgpr_write_b32 a62, v34
	s_waitcnt vmcnt(21)
	v_add_f64 v[100:101], v[2:3], -v[0:1]
	s_waitcnt vmcnt(20)
	v_add_f64 v[34:35], v[10:11], -v[2:3]
	v_accvgpr_write_b32 a65, v35
	v_accvgpr_write_b32 a64, v34
	s_waitcnt vmcnt(19)
	v_add_f64 v[112:113], v[4:5], -v[2:3]
	v_add_f64 v[2:3], v[10:11], -v[8:9]
	s_waitcnt vmcnt(18)
	v_add_f64 v[34:35], v[12:13], -v[4:5]
	v_accvgpr_write_b32 a67, v35
	s_waitcnt vmcnt(17)
	v_add_f64 v[104:105], v[6:7], -v[0:1]
	v_accvgpr_write_b32 a66, v34
	v_add_f64 v[102:103], v[4:5], -v[6:7]
	s_waitcnt vmcnt(16)
	v_add_f64 v[34:35], v[14:15], -v[6:7]
	v_accvgpr_write_b32 a69, v35
	v_accvgpr_write_b32 a68, v34
	v_pk_mov_b32 v[6:7], 0, 0
	v_add_f64 v[114:115], v[14:15], -v[8:9]
	v_add_f64 v[116:117], v[12:13], -v[14:15]
	;; [unrolled: 1-line block ×3, first 2 shown]
	v_pk_mov_b32 v[8:9], v[6:7], v[6:7] op_sel:[0,1]
	v_pk_mov_b32 v[10:11], v[6:7], v[6:7] op_sel:[0,1]
	s_waitcnt vmcnt(14)
	v_add_f64 v[34:35], v[24:25], -v[16:17]
	v_accvgpr_write_b32 a71, v35
	v_accvgpr_write_b32 a70, v34
	s_waitcnt vmcnt(13)
	v_add_f64 v[122:123], v[18:19], -v[16:17]
	s_waitcnt vmcnt(12)
	v_add_f64 v[134:135], v[20:21], -v[18:19]
	v_pk_mov_b32 v[12:13], v[6:7], v[6:7] op_sel:[0,1]
	s_waitcnt vmcnt(11)
	v_add_f64 v[124:125], v[22:23], -v[16:17]
	v_add_f64 v[126:127], v[20:21], -v[22:23]
	s_waitcnt vmcnt(6)
	v_add_f64 v[0:1], v[48:49], -v[46:47]
	v_accvgpr_write_b32 a109, v1
	v_accvgpr_write_b32 a108, v0
	s_waitcnt vmcnt(3)
	v_add_f64 v[0:1], v[54:55], -v[52:53]
	v_accvgpr_write_b32 a115, v1
	v_accvgpr_write_b32 a114, v0
	s_waitcnt vmcnt(1)
	v_add_f64 v[0:1], v[58:59], -v[50:51]
	v_add_f64 v[34:35], v[26:27], -v[18:19]
	v_accvgpr_write_b32 a119, v1
	v_accvgpr_write_b32 a73, v35
	;; [unrolled: 1-line block ×3, first 2 shown]
	s_waitcnt vmcnt(0)
	v_add_f64 v[0:1], v[32:33], -v[56:57]
	v_accvgpr_write_b32 a72, v34
	v_add_f64 v[34:35], v[28:29], -v[20:21]
	v_accvgpr_write_b32 a123, v1
	v_accvgpr_write_b32 a75, v35
	;; [unrolled: 1-line block ×3, first 2 shown]
	v_mul_f64 v[0:1], 0.5, 0.5
	v_accvgpr_write_b32 a74, v34
	v_add_f64 v[34:35], v[30:31], -v[22:23]
	v_mul_f64 v[0:1], v[0:1], 0.5
	v_accvgpr_write_b32 a77, v35
	v_accvgpr_write_b32 a133, v1
	;; [unrolled: 1-line block ×3, first 2 shown]
	v_add_f64 v[136:137], v[26:27], -v[24:25]
	v_add_f64 v[140:141], v[30:31], -v[24:25]
	;; [unrolled: 1-line block ×12, first 2 shown]
	v_accvgpr_write_b32 a132, v0
	v_pk_mov_b32 v[16:17], v[6:7], v[6:7] op_sel:[0,1]
	v_pk_mov_b32 v[18:19], v[6:7], v[6:7] op_sel:[0,1]
	;; [unrolled: 1-line block ×74, first 2 shown]
	v_accvgpr_write_b32 a153, v104          ;  Reload Reuse
	v_accvgpr_write_b32 a152, v105          ;  Reload Reuse
.LBB0_2:                                ; =>This Loop Header: Depth=1
                                        ;     Child Loop BB0_3 Depth 2
                                        ;       Child Loop BB0_4 Depth 3
	s_xor_b64 s[4:5], s[0:1], -1
	s_cmp_eq_u32 s7, 1
	s_cselect_b32 s7, s16, 0x3fcb0cb1
	s_cselect_b32 s6, s17, 0x74df99c7
	v_add_f64 v[70:71], -s[6:7], 1.0
	s_mov_b32 s12, 0
	s_mov_b64 s[0:1], -1
.LBB0_3:                                ;   Parent Loop BB0_2 Depth=1
                                        ; =>  This Loop Header: Depth=2
                                        ;       Child Loop BB0_4 Depth 3
	s_xor_b64 s[10:11], s[0:1], -1
	s_cmp_eq_u32 s12, 1
	s_cselect_b32 s13, s16, 0x3fcb0cb1
	s_cselect_b32 s12, s17, 0x74df99c7
	v_add_f64 v[108:109], -s[12:13], 1.0
	v_pk_mov_b32 v[0:1], s[12:13], s[12:13] op_sel:[0,1]
	v_mul_f64 v[176:177], s[6:7], v[0:1]
	v_accvgpr_write_b32 a135, v109
	v_accvgpr_read_b32 v0, a64
	v_mul_f64 v[172:173], v[70:71], v[108:109]
	v_accvgpr_write_b32 a134, v108
	v_mul_f64 v[108:109], s[6:7], v[108:109]
	v_accvgpr_read_b32 v1, a65
	v_mul_f64 v[180:181], v[0:1], v[108:109]
	v_accvgpr_read_b32 v0, a62
	v_accvgpr_read_b32 v1, a63
	v_fmac_f64_e32 v[180:181], v[0:1], v[172:173]
	v_accvgpr_read_b32 v0, a66
	v_accvgpr_read_b32 v1, a67
	v_fmac_f64_e32 v[180:181], v[0:1], v[176:177]
	v_accvgpr_read_b32 v0, a68
	v_mul_f64 v[178:179], v[70:71], s[12:13]
	v_accvgpr_read_b32 v1, a69
	v_fmac_f64_e32 v[180:181], v[0:1], v[178:179]
	v_accvgpr_read_b32 v0, a72
	v_accvgpr_write_b32 a144, v180
	v_accvgpr_read_b32 v1, a73
	v_accvgpr_write_b32 a145, v181
	v_mul_f64 v[180:181], v[0:1], v[108:109]
	v_accvgpr_read_b32 v0, a70
	v_accvgpr_read_b32 v1, a71
	v_fmac_f64_e32 v[180:181], v[0:1], v[172:173]
	v_accvgpr_read_b32 v0, a74
	v_accvgpr_read_b32 v1, a75
	v_fmac_f64_e32 v[180:181], v[0:1], v[176:177]
	;; [unrolled: 3-line block ×3, first 2 shown]
	v_accvgpr_read_b32 v0, a108
	v_accvgpr_read_b32 v1, a109
	v_accvgpr_write_b32 a143, v109
	v_accvgpr_write_b32 a142, v108
	v_mul_f64 v[108:109], v[0:1], v[108:109]
	v_accvgpr_read_b32 v0, a118
	v_accvgpr_read_b32 v1, a119
	v_fmac_f64_e32 v[108:109], v[0:1], v[172:173]
	v_accvgpr_read_b32 v0, a114
	v_accvgpr_read_b32 v1, a115
	v_fmac_f64_e32 v[108:109], v[0:1], v[176:177]
	;; [unrolled: 3-line block ×3, first 2 shown]
	v_accvgpr_write_b32 a146, v180
	v_accvgpr_write_b32 a136, v172
	;; [unrolled: 1-line block ×5, first 2 shown]
	v_accvgpr_mov_b32 a151, a133
	s_mov_b64 s[14:15], -1
	v_accvgpr_write_b32 a147, v181
	v_accvgpr_write_b32 a137, v173
	;; [unrolled: 1-line block ×5, first 2 shown]
	s_mov_b32 s0, 0
	v_accvgpr_mov_b32 a150, a132
.LBB0_4:                                ;   Parent Loop BB0_2 Depth=1
                                        ;     Parent Loop BB0_3 Depth=2
                                        ; =>    This Inner Loop Header: Depth=3
	s_cmp_eq_u32 s0, 1
	v_accvgpr_write_b32 a157, v128          ;  Reload Reuse
	v_cndmask_b32_e64 v0, 0, 1, s[14:15]
	s_cselect_b32 s14, s17, 0x74df99c7
	s_cselect_b32 s15, s16, 0x3fcb0cb1
	v_accvgpr_write_b32 a156, v129          ;  Reload Reuse
	v_accvgpr_write_b32 a159, v4            ;  Reload Reuse
	v_add_f64 v[108:109], -s[14:15], 1.0
	v_accvgpr_read_b32 v128, a134
	v_accvgpr_write_b32 a12, v16
	v_accvgpr_read_b32 v104, a153           ;  Reload Reuse
	v_accvgpr_write_b32 a158, v5            ;  Reload Reuse
	v_cmp_ne_u32_e64 s[0:1], 1, v0
	v_mul_f64 v[4:5], v[70:71], v[108:109]
	v_accvgpr_write_b32 a8, v12
	v_accvgpr_read_b32 v129, a135
	v_pk_mov_b32 v[0:1], s[14:15], s[14:15] op_sel:[0,1]
	v_accvgpr_write_b32 a46, v50
	v_accvgpr_write_b32 a2, v6
	;; [unrolled: 1-line block ×3, first 2 shown]
	v_mul_f64 v[16:17], s[12:13], v[108:109]
	v_accvgpr_write_b32 a6, v10
	v_accvgpr_read_b32 v105, a152           ;  Reload Reuse
	v_accvgpr_write_b32 a9, v13
	v_mul_f64 v[12:13], v[128:129], v[108:109]
	v_accvgpr_write_b32 a47, v51
	v_mul_f64 v[50:51], s[6:7], v[0:1]
	;; [unrolled: 2-line block ×3, first 2 shown]
	v_accvgpr_write_b32 a10, v14
	v_accvgpr_write_b32 a4, v8
	v_accvgpr_write_b32 a7, v11
	v_mul_f64 v[10:11], s[6:7], v[108:109]
	v_mul_f64 v[0:1], v[102:103], v[16:17]
	v_accvgpr_write_b32 a80, v102
	v_mul_f64 v[104:105], v[104:105], v[4:5]
	v_accvgpr_write_b32 a82, v112
	v_accvgpr_write_b32 a11, v15
	v_mul_f64 v[14:15], v[128:129], s[14:15]
	v_accvgpr_write_b32 a5, v9
	v_mul_f64 v[8:9], v[70:71], s[14:15]
	v_fmac_f64_e32 v[0:1], v[100:101], v[12:13]
	v_accvgpr_write_b32 a85, v3
	v_accvgpr_write_b32 a81, v103
	v_mul_f64 v[102:103], v[152:153], v[16:17]
	v_fmac_f64_e32 v[104:105], v[112:113], v[10:11]
	v_accvgpr_write_b32 a83, v113
	v_mul_f64 v[112:113], v[124:125], v[4:5]
	v_accvgpr_write_b32 a86, v114
	v_fmac_f64_e32 v[0:1], v[2:3], v[14:15]
	v_accvgpr_write_b32 a84, v2
	v_mul_f64 v[2:3], v[126:127], v[16:17]
	v_fmac_f64_e32 v[102:103], v[148:149], v[12:13]
	v_fmac_f64_e32 v[104:105], v[114:115], v[8:9]
	;; [unrolled: 1-line block ×3, first 2 shown]
	v_accvgpr_write_b32 a87, v115
	v_mul_f64 v[114:115], v[154:155], v[4:5]
	v_fmac_f64_e32 v[2:3], v[122:123], v[12:13]
	v_fmac_f64_e32 v[102:103], v[158:159], v[14:15]
	;; [unrolled: 1-line block ×8, first 2 shown]
	v_accvgpr_write_b32 a16, v20
	v_accvgpr_read_b32 v177, a145
	v_fmac_f64_e32 v[2:3], v[142:143], v[6:7]
	v_fmac_f64_e32 v[114:115], v[164:165], v[50:51]
	v_accvgpr_write_b32 a14, v18
	v_accvgpr_write_b32 a17, v21
	v_mul_f64 v[20:21], v[112:113], v[102:103]
	v_accvgpr_write_b32 a18, v22
	v_accvgpr_read_b32 v176, a144
	v_fmac_f64_e32 v[104:105], v[120:121], v[50:51]
	v_accvgpr_write_b32 a15, v19
	v_mul_f64 v[18:19], v[2:3], v[114:115]
	v_accvgpr_write_b32 a19, v23
	v_mul_f64 v[22:23], v[176:177], v[20:21]
	v_accvgpr_read_b32 v179, a147
	v_fmac_f64_e32 v[0:1], v[116:117], v[6:7]
	v_fma_f64 v[18:19], v[176:177], v[18:19], -v[22:23]
	v_mul_f64 v[22:23], v[104:105], v[102:103]
	v_accvgpr_read_b32 v178, a146
	v_fmac_f64_e32 v[18:19], v[178:179], v[22:23]
	v_mul_f64 v[22:23], v[0:1], v[114:115]
	v_accvgpr_write_b32 a20, v24
	v_accvgpr_read_b32 v181, a149
	v_fma_f64 v[18:19], -v[178:179], v[22:23], v[18:19]
	v_accvgpr_write_b32 a21, v25
	v_mul_f64 v[24:25], v[104:105], v[2:3]
	v_accvgpr_write_b32 a78, v100
	v_accvgpr_read_b32 v180, a148
	v_accvgpr_write_b32 a79, v101
	v_fma_f64 v[100:101], -v[180:181], v[24:25], v[18:19]
	v_mul_f64 v[18:19], v[0:1], v[112:113]
	v_fmac_f64_e32 v[100:101], v[180:181], v[18:19]
	v_add_f64 v[18:19], v[100:101], s[2:3]
	v_accvgpr_write_b32 a22, v26
	v_accvgpr_write_b32 a23, v27
	v_div_scale_f64 v[26:27], s[18:19], v[18:19], v[18:19], 1.0
	v_accvgpr_write_b32 a24, v28
	v_accvgpr_write_b32 a25, v29
	v_rcp_f64_e32 v[28:29], v[26:27]
	v_accvgpr_write_b32 a26, v30
	v_accvgpr_write_b32 a27, v31
	;; [unrolled: 1-line block ×3, first 2 shown]
	v_fma_f64 v[30:31], -v[26:27], v[28:29], 1.0
	v_fmac_f64_e32 v[28:29], v[28:29], v[30:31]
	v_fma_f64 v[30:31], -v[26:27], v[28:29], 1.0
	v_fmac_f64_e32 v[28:29], v[28:29], v[30:31]
	v_div_scale_f64 v[30:31], vcc, 1.0, v[18:19], 1.0
	v_accvgpr_write_b32 a29, v33
	v_mul_f64 v[32:33], v[30:31], v[28:29]
	v_fma_f64 v[26:27], -v[26:27], v[32:33], v[30:31]
	s_nop 0
	v_div_fmas_f64 v[26:27], v[26:27], v[28:29], v[32:33]
	v_div_fixup_f64 v[18:19], v[26:27], v[18:19], 1.0
	v_mul_f64 v[26:27], v[178:179], v[114:115]
	v_fma_f64 v[26:27], v[180:181], v[112:113], -v[26:27]
	v_accvgpr_write_b32 a48, v52
	v_accvgpr_write_b32 a49, v53
	v_mul_f64 v[52:53], v[26:27], v[18:19]
	v_mul_f64 v[26:27], v[180:181], v[2:3]
	v_fma_f64 v[22:23], v[104:105], v[102:103], -v[22:23]
	v_accvgpr_write_b32 a56, v60
	v_fma_f64 v[26:27], v[178:179], v[102:103], -v[26:27]
	v_accvgpr_write_b32 a50, v54
	;; [unrolled: 2-line block ×3, first 2 shown]
	v_accvgpr_write_b32 a57, v61
	v_mul_f64 v[60:61], v[22:23], v[18:19]
	v_mul_f64 v[22:23], v[176:177], v[112:113]
	v_accvgpr_write_b32 a51, v55
	v_mul_f64 v[54:55], v[26:27], v[18:19]
	v_accvgpr_write_b32 a53, v57
	v_mul_f64 v[56:57], v[20:21], v[18:19]
	v_mul_f64 v[20:21], v[180:181], v[104:105]
	;; [unrolled: 1-line block ×3, first 2 shown]
	v_fma_f64 v[22:23], v[178:179], v[104:105], -v[22:23]
	v_accvgpr_write_b32 a88, v116
	v_fma_f64 v[20:21], v[176:177], v[114:115], -v[20:21]
	v_fma_f64 v[26:27], v[180:181], v[0:1], -v[26:27]
	v_accvgpr_write_b32 a54, v58
	v_accvgpr_write_b32 a89, v117
	v_mul_f64 v[116:117], v[22:23], v[18:19]
	v_mul_f64 v[22:23], v[178:179], v[0:1]
	v_accvgpr_write_b32 a155, v166          ;  Reload Reuse
	v_mul_f64 v[20:21], v[20:21], v[18:19]
	v_accvgpr_write_b32 a55, v59
	v_mul_f64 v[58:59], v[26:27], v[18:19]
	v_fma_f64 v[22:23], v[176:177], v[2:3], -v[22:23]
	v_accvgpr_write_b32 a90, v120
	v_accvgpr_write_b32 a120, v154
	v_accvgpr_write_b32 a154, v167          ;  Reload Reuse
	v_accvgpr_write_b32 a91, v121
	v_mul_f64 v[120:121], v[22:23], v[18:19]
	v_fma_f64 v[22:23], v[0:1], v[112:113], -v[24:25]
	v_accvgpr_write_b32 a92, v122
	v_mul_f64 v[28:29], v[58:59], 0
	v_accvgpr_write_b32 a42, v46
	v_accvgpr_write_b32 a36, v40
	;; [unrolled: 1-line block ×3, first 2 shown]
	v_mul_f64 v[166:167], v[52:53], 0
	v_mul_f64 v[172:173], v[20:21], 0
	v_accvgpr_write_b32 a121, v155
	v_mul_f64 v[154:155], v[116:117], 0
	v_accvgpr_write_b32 a93, v123
	v_mul_f64 v[122:123], v[22:23], v[18:19]
	v_mul_f64 v[24:25], v[54:55], 0
	v_accvgpr_write_b32 a38, v42
	v_accvgpr_write_b32 a43, v47
	v_fma_f64 v[46:47], v[12:13], v[20:21], v[28:29]
	v_mul_f64 v[26:27], v[120:121], 0
	v_accvgpr_write_b32 a40, v44
	v_accvgpr_write_b32 a32, v36
	;; [unrolled: 1-line block ×3, first 2 shown]
	v_fma_f64 v[40:41], v[16:17], v[20:21], v[28:29]
	v_accvgpr_write_b32 a34, v38
	v_accvgpr_write_b32 a31, v35
	v_fma_f64 v[34:35], v[14:15], v[20:21], v[28:29]
	v_fmac_f64_e32 v[28:29], v[6:7], v[20:21]
	v_fma_f64 v[18:19], v[4:5], v[54:55], v[166:167]
	v_fma_f64 v[22:23], v[4:5], v[58:59], v[172:173]
	;; [unrolled: 1-line block ×6, first 2 shown]
	v_accvgpr_read_b32 v50, a136
	v_accvgpr_write_b32 a39, v43
	v_fma_f64 v[42:43], v[12:13], v[52:53], v[24:25]
	v_accvgpr_write_b32 a41, v45
	v_fma_f64 v[44:45], v[12:13], v[116:117], v[26:27]
	;; [unrolled: 2-line block ×4, first 2 shown]
	v_fma_f64 v[30:31], v[14:15], v[52:53], v[24:25]
	v_fma_f64 v[32:33], v[14:15], v[116:117], v[26:27]
	v_fmac_f64_e32 v[24:25], v[6:7], v[52:53]
	v_fmac_f64_e32 v[26:27], v[6:7], v[116:117]
	v_fma_f64 v[12:13], v[10:11], v[54:55], v[166:167]
	v_fma_f64 v[16:17], v[10:11], v[58:59], v[172:173]
	;; [unrolled: 1-line block ×6, first 2 shown]
	v_fmac_f64_e32 v[166:167], 0, v[54:55]
	v_accvgpr_read_b32 v51, a137
	v_fmac_f64_e32 v[172:173], 0, v[58:59]
	v_fmac_f64_e32 v[154:155], 0, v[120:121]
	v_fma_f64 v[240:241], v[50:51], v[56:57], v[166:167]
	v_fma_f64 v[232:233], v[50:51], v[60:61], v[172:173]
	;; [unrolled: 1-line block ×3, first 2 shown]
	v_accvgpr_read_b32 v50, a142
	v_accvgpr_read_b32 v51, a143
	v_fma_f64 v[204:205], v[50:51], v[56:57], v[166:167]
	v_fma_f64 v[238:239], v[50:51], v[60:61], v[172:173]
	;; [unrolled: 1-line block ×3, first 2 shown]
	v_accvgpr_read_b32 v50, a140
	v_accvgpr_read_b32 v51, a141
	v_accvgpr_write_b32 a44, v48
	v_fma_f64 v[190:191], v[50:51], v[56:57], v[166:167]
	v_fma_f64 v[196:197], v[50:51], v[60:61], v[172:173]
	;; [unrolled: 1-line block ×3, first 2 shown]
	v_accvgpr_read_b32 v50, a138
	v_accvgpr_write_b32 a45, v49
	v_add_f64 v[48:49], |v[100:101]|, s[2:3]
	v_accvgpr_read_b32 v51, a139
	v_fmac_f64_e32 v[166:167], v[50:51], v[56:57]
	v_fmac_f64_e32 v[172:173], v[50:51], v[60:61]
	;; [unrolled: 1-line block ×3, first 2 shown]
	v_div_scale_f64 v[50:51], s[18:19], v[48:49], v[48:49], 1.0
	v_rcp_f64_e32 v[52:53], v[50:51]
	v_fmac_f64_e32 v[42:43], 0, v[56:57]
	v_fmac_f64_e32 v[36:37], 0, v[56:57]
	;; [unrolled: 1-line block ×3, first 2 shown]
	v_fma_f64 v[54:55], -v[50:51], v[52:53], 1.0
	v_fmac_f64_e32 v[52:53], v[52:53], v[54:55]
	v_fma_f64 v[54:55], -v[50:51], v[52:53], 1.0
	v_fmac_f64_e32 v[52:53], v[52:53], v[54:55]
	v_div_scale_f64 v[54:55], vcc, 1.0, v[48:49], 1.0
	v_fmac_f64_e32 v[24:25], 0, v[56:57]
	v_fmac_f64_e32 v[18:19], 0, v[56:57]
	;; [unrolled: 1-line block ×5, first 2 shown]
	v_mul_f64 v[56:57], v[54:55], v[52:53]
	v_fma_f64 v[50:51], -v[50:51], v[56:57], v[54:55]
	v_div_fmas_f64 v[50:51], v[50:51], v[52:53], v[56:57]
	v_div_fixup_f64 v[48:49], v[50:51], v[48:49], 1.0
	v_mul_f64 v[56:57], v[0:1], v[48:49]
	v_mul_f64 v[116:117], v[104:105], v[48:49]
	;; [unrolled: 1-line block ×5, first 2 shown]
	v_accvgpr_write_b32 a94, v124
	v_mul_f64 v[58:59], v[176:177], v[48:49]
	v_mul_f64 v[120:121], v[112:113], v[48:49]
	v_accvgpr_write_b32 a95, v125
	v_mul_f64 v[124:125], v[52:53], 0
	v_accvgpr_write_b32 a96, v126
	v_fma_f64 v[0:1], v[116:117], -s[12:13], v[102:103]
	v_fmac_f64_e32 v[44:45], 0, v[122:123]
	v_fmac_f64_e32 v[38:39], 0, v[122:123]
	;; [unrolled: 1-line block ×8, first 2 shown]
	v_mul_f64 v[54:55], v[178:179], v[48:49]
	v_mul_f64 v[122:123], v[114:115], v[48:49]
	v_accvgpr_write_b32 a97, v127
	v_mul_f64 v[126:127], v[50:51], 0
	v_fma_f64 v[178:179], -v[58:59], v[108:109], v[0:1]
	v_fma_f64 v[0:1], v[120:121], -s[12:13], v[124:125]
	v_mul_f64 v[48:49], v[180:181], v[48:49]
	v_fma_f64 v[188:189], -v[54:55], v[108:109], v[0:1]
	v_fma_f64 v[0:1], v[122:123], -s[12:13], v[126:127]
	v_accvgpr_write_b32 a130, v164
	v_accvgpr_write_b32 a124, v158
	;; [unrolled: 1-line block ×3, first 2 shown]
	v_mul_f64 v[112:113], v[116:117], -v[128:129]
	v_fma_f64 v[234:235], v[116:117], -v[128:129], v[102:103]
	v_fma_f64 v[2:3], v[120:121], -v[128:129], v[124:125]
	v_mul_f64 v[252:253], v[116:117], -s[12:13]
	v_fma_f64 v[184:185], -v[48:49], v[108:109], v[0:1]
	v_accvgpr_write_b32 a131, v165
	v_mul_f64 v[164:165], v[128:129], v[116:117]
	v_accvgpr_write_b32 a125, v159
	v_fma_f64 v[158:159], v[128:129], v[116:117], v[102:103]
	v_accvgpr_write_b32 a58, v62
	v_accvgpr_write_b32 a129, v163
	v_fma_f64 v[162:163], v[128:129], v[120:121], v[124:125]
	v_mul_f64 v[0:1], s[12:13], v[116:117]
	v_fmac_f64_e32 v[102:103], s[12:13], v[116:117]
	v_fmac_f64_e32 v[124:125], s[12:13], v[120:121]
	v_accvgpr_write_b32 a116, v152
	v_mul_f64 v[116:117], v[116:117], 0
	v_mul_f64 v[114:115], v[120:121], -v[128:129]
	v_mul_f64 v[254:255], v[120:121], -s[12:13]
	v_accvgpr_write_b32 a59, v63
	v_mul_f64 v[62:63], v[128:129], v[120:121]
	v_accvgpr_write_b32 a60, v64
	v_accvgpr_write_b32 a126, v160
	;; [unrolled: 1-line block ×3, first 2 shown]
	v_mul_f64 v[104:105], s[12:13], v[120:121]
	v_accvgpr_write_b32 a117, v153
	v_fma_f64 v[152:153], -v[54:55], s[14:15], v[124:125]
	v_fma_f64 v[124:125], v[70:71], v[56:57], v[116:117]
	v_accvgpr_write_b32 a102, v140
	v_mul_f64 v[120:121], v[120:121], 0
	v_mul_f64 v[180:181], v[122:123], 0
	v_accvgpr_write_b32 a100, v136
	v_accvgpr_write_b32 a98, v134
	v_fmac_f64_e32 v[46:47], 0, v[60:61]
	v_fmac_f64_e32 v[40:41], 0, v[60:61]
	;; [unrolled: 1-line block ×8, first 2 shown]
	v_mul_f64 v[60:61], v[122:123], -v[128:129]
	v_fma_f64 v[244:245], v[122:123], -v[128:129], v[126:127]
	v_mul_f64 v[250:251], v[122:123], -s[12:13]
	v_accvgpr_write_b32 a61, v65
	v_mul_f64 v[64:65], v[128:129], v[122:123]
	v_accvgpr_write_b32 a127, v161
	v_fma_f64 v[160:161], v[128:129], v[122:123], v[126:127]
	v_accvgpr_write_b32 a111, v149
	v_fma_f64 v[148:149], -v[58:59], s[14:15], v[102:103]
	v_mul_f64 v[102:103], s[12:13], v[122:123]
	v_fmac_f64_e32 v[126:127], s[12:13], v[122:123]
	v_accvgpr_write_b32 a103, v141
	v_fma_f64 v[140:141], v[58:59], -v[108:109], v[124:125]
	v_fma_f64 v[124:125], v[70:71], v[52:53], v[120:121]
	v_accvgpr_write_b32 a106, v144
	v_fma_f64 v[122:123], v[70:71], v[50:51], v[180:181]
	v_accvgpr_write_b32 a104, v142
	v_fma_f64 v[128:129], s[6:7], v[56:57], v[116:117]
	v_accvgpr_write_b32 a101, v137
	v_fma_f64 v[136:137], s[6:7], v[52:53], v[120:121]
	v_accvgpr_write_b32 a99, v135
	v_fma_f64 v[134:135], s[6:7], v[50:51], v[180:181]
	v_fmac_f64_e32 v[234:235], v[108:109], v[58:59]
	v_fmac_f64_e32 v[2:3], v[108:109], v[54:55]
	;; [unrolled: 1-line block ×3, first 2 shown]
	v_accvgpr_write_b32 a107, v145
	v_fma_f64 v[144:145], v[54:55], -v[108:109], v[124:125]
	v_accvgpr_write_b32 a105, v143
	v_fma_f64 v[142:143], v[48:49], -v[108:109], v[122:123]
	v_fmac_f64_e32 v[128:129], v[108:109], v[58:59]
	v_fmac_f64_e32 v[136:137], v[108:109], v[54:55]
	;; [unrolled: 1-line block ×3, first 2 shown]
	v_fma_f64 v[108:109], -v[56:57], v[70:71], v[116:117]
	v_accvgpr_write_b32 a112, v150
	v_fma_f64 v[122:123], v[58:59], -s[14:15], v[108:109]
	v_fma_f64 v[108:109], -v[52:53], v[70:71], v[120:121]
	v_accvgpr_write_b32 a113, v151
	v_fma_f64 v[150:151], -v[48:49], s[14:15], v[126:127]
	v_fma_f64 v[126:127], v[54:55], -s[14:15], v[108:109]
	v_fma_f64 v[108:109], -v[50:51], v[70:71], v[180:181]
	v_fma_f64 v[124:125], v[48:49], -s[14:15], v[108:109]
	v_fma_f64 v[186:187], -v[52:53], s[6:7], v[120:121]
	v_fma_f64 v[180:181], -v[50:51], s[6:7], v[180:181]
	v_fma_f64 v[120:121], v[50:51], -v[70:71], v[64:65]
	v_fma_f64 v[108:109], v[56:57], -s[6:7], v[112:113]
	;; [unrolled: 1-line block ×3, first 2 shown]
	v_fmac_f64_e32 v[102:103], v[70:71], v[50:51]
	v_fmac_f64_e32 v[250:251], s[6:7], v[50:51]
	;; [unrolled: 1-line block ×8, first 2 shown]
	v_accvgpr_read_b32 v48, a150
	v_accvgpr_read_b32 v49, a151
	v_mul_f64 v[100:101], v[48:49], |v[100:101]|
	v_mul_f64 v[48:49], v[46:47], v[46:47]
	v_fmac_f64_e32 v[48:49], v[42:43], v[42:43]
	v_fmac_f64_e32 v[48:49], v[44:45], v[44:45]
	v_fmac_f64_e32 v[230:231], v[100:101], v[48:49]
	v_mul_f64 v[48:49], v[46:47], v[40:41]
	v_fmac_f64_e32 v[48:49], v[42:43], v[36:37]
	v_fmac_f64_e32 v[48:49], v[44:45], v[38:39]
	v_fmac_f64_e32 v[228:229], v[100:101], v[48:49]
	;; [unrolled: 4-line block ×10, first 2 shown]
	v_mul_f64 v[48:49], v[46:47], v[196:197]
	v_mul_f64 v[46:47], v[46:47], v[172:173]
	v_fmac_f64_e32 v[48:49], v[42:43], v[190:191]
	v_fmac_f64_e32 v[46:47], v[42:43], v[166:167]
	v_mul_f64 v[42:43], v[40:41], v[40:41]
	v_fmac_f64_e32 v[42:43], v[36:37], v[36:37]
	v_fmac_f64_e32 v[42:43], v[38:39], v[38:39]
	v_fmac_f64_e32 v[226:227], v[100:101], v[42:43]
	v_mul_f64 v[42:43], v[40:41], v[34:35]
	v_fmac_f64_e32 v[42:43], v[36:37], v[30:31]
	;; [unrolled: 4-line block ×9, first 2 shown]
	v_fmac_f64_e32 v[42:43], v[38:39], v[236:237]
	v_fmac_f64_e32 v[86:87], v[100:101], v[42:43]
	v_mul_f64 v[42:43], v[40:41], v[196:197]
	v_mul_f64 v[40:41], v[40:41], v[172:173]
	v_fmac_f64_e32 v[42:43], v[36:37], v[190:191]
	v_fmac_f64_e32 v[40:41], v[36:37], v[166:167]
	v_mul_f64 v[36:37], v[34:35], v[34:35]
	v_fmac_f64_e32 v[36:37], v[30:31], v[30:31]
	v_fmac_f64_e32 v[36:37], v[32:33], v[32:33]
	v_fmac_f64_e32 v[218:219], v[100:101], v[36:37]
	v_mul_f64 v[36:37], v[34:35], v[28:29]
	v_fmac_f64_e32 v[36:37], v[30:31], v[24:25]
	;; [unrolled: 4-line block ×8, first 2 shown]
	v_fmac_f64_e32 v[36:37], v[32:33], v[236:237]
	v_fmac_f64_e32 v[74:75], v[100:101], v[36:37]
	v_mul_f64 v[36:37], v[34:35], v[196:197]
	v_mul_f64 v[34:35], v[34:35], v[172:173]
	v_fmac_f64_e32 v[36:37], v[30:31], v[190:191]
	v_fmac_f64_e32 v[34:35], v[30:31], v[166:167]
	v_mul_f64 v[30:31], v[28:29], v[28:29]
	v_fmac_f64_e32 v[30:31], v[24:25], v[24:25]
	v_fmac_f64_e32 v[30:31], v[26:27], v[26:27]
	v_fmac_f64_e32 v[206:207], v[100:101], v[30:31]
	v_mul_f64 v[30:31], v[28:29], v[22:23]
	v_fmac_f64_e32 v[30:31], v[24:25], v[18:19]
	;; [unrolled: 4-line block ×7, first 2 shown]
	v_fmac_f64_e32 v[30:31], v[26:27], v[236:237]
	v_fmac_f64_e32 v[66:67], v[100:101], v[30:31]
	v_mul_f64 v[30:31], v[28:29], v[196:197]
	v_mul_f64 v[28:29], v[28:29], v[172:173]
	v_fmac_f64_e32 v[30:31], v[24:25], v[190:191]
	v_fmac_f64_e32 v[28:29], v[24:25], v[166:167]
	v_mul_f64 v[24:25], v[22:23], v[22:23]
	v_fmac_f64_e32 v[24:25], v[18:19], v[18:19]
	v_fmac_f64_e32 v[24:25], v[20:21], v[20:21]
	v_fmac_f64_e32 v[170:171], v[100:101], v[24:25]
	v_mul_f64 v[24:25], v[22:23], v[16:17]
	v_fmac_f64_e32 v[24:25], v[18:19], v[12:13]
	;; [unrolled: 4-line block ×4, first 2 shown]
	v_fmac_f64_e32 v[24:25], v[18:19], v[246:247]
	v_fmac_f64_e32 v[72:73], v[100:101], v[42:43]
	;; [unrolled: 1-line block ×4, first 2 shown]
	v_accvgpr_read_b32 v27, a23
	v_fmac_f64_e32 v[24:25], v[20:21], v[248:249]
	v_accvgpr_read_b32 v26, a22
	v_fmac_f64_e32 v[84:85], v[100:101], v[24:25]
	v_mul_f64 v[24:25], v[22:23], v[232:233]
	v_accvgpr_write_b32 a22, v72
	v_fmac_f64_e32 v[24:25], v[18:19], v[240:241]
	v_accvgpr_write_b32 a23, v73
	v_accvgpr_read_b32 v72, a155            ;  Reload Reuse
	v_fmac_f64_e32 v[24:25], v[20:21], v[242:243]
	v_accvgpr_read_b32 v73, a154            ;  Reload Reuse
	v_fma_f64 v[176:177], -v[56:57], s[6:7], v[116:117]
	v_fma_f64 v[116:117], v[56:57], -v[70:71], v[164:165]
	v_fmac_f64_e32 v[0:1], v[70:71], v[56:57]
	v_fmac_f64_e32 v[252:253], s[6:7], v[56:57]
	;; [unrolled: 1-line block ×3, first 2 shown]
	v_mul_f64 v[24:25], v[22:23], v[238:239]
	v_fmac_f64_e32 v[158:159], s[14:15], v[58:59]
	v_fmac_f64_e32 v[176:177], s[14:15], v[58:59]
	;; [unrolled: 1-line block ×6, first 2 shown]
	v_accvgpr_read_b32 v59, a55
	v_fmac_f64_e32 v[24:25], v[18:19], v[204:205]
	v_accvgpr_read_b32 v58, a54
	v_fmac_f64_e32 v[24:25], v[20:21], v[236:237]
	v_fmac_f64_e32 v[58:59], v[100:101], v[24:25]
	v_mul_f64 v[24:25], v[22:23], v[196:197]
	v_mul_f64 v[22:23], v[22:23], v[172:173]
	v_fmac_f64_e32 v[24:25], v[18:19], v[190:191]
	v_fmac_f64_e32 v[22:23], v[18:19], v[166:167]
	v_mul_f64 v[18:19], v[16:17], v[16:17]
	v_fmac_f64_e32 v[18:19], v[12:13], v[12:13]
	v_fmac_f64_e32 v[18:19], v[14:15], v[14:15]
	v_fmac_f64_e32 v[110:111], v[100:101], v[18:19]
	v_mul_f64 v[18:19], v[16:17], v[10:11]
	v_fmac_f64_e32 v[18:19], v[12:13], v[6:7]
	;; [unrolled: 4-line block ×3, first 2 shown]
	v_fmac_f64_e32 v[18:19], v[14:15], v[248:249]
	v_fmac_f64_e32 v[76:77], v[100:101], v[18:19]
	v_mul_f64 v[18:19], v[16:17], v[232:233]
	v_accvgpr_read_b32 v65, a61
	v_fmac_f64_e32 v[18:19], v[12:13], v[240:241]
	v_accvgpr_read_b32 v64, a60
	v_fmac_f64_e32 v[18:19], v[14:15], v[242:243]
	v_fmac_f64_e32 v[64:65], v[100:101], v[18:19]
	v_mul_f64 v[18:19], v[16:17], v[238:239]
	v_accvgpr_read_b32 v51, a47
	v_fmac_f64_e32 v[18:19], v[12:13], v[204:205]
	v_accvgpr_read_b32 v50, a46
	v_fmac_f64_e32 v[18:19], v[14:15], v[236:237]
	v_fmac_f64_e32 v[50:51], v[100:101], v[18:19]
	v_mul_f64 v[18:19], v[16:17], v[196:197]
	v_mul_f64 v[16:17], v[16:17], v[172:173]
	v_fmac_f64_e32 v[18:19], v[12:13], v[190:191]
	v_fmac_f64_e32 v[16:17], v[12:13], v[166:167]
	v_mul_f64 v[12:13], v[10:11], v[10:11]
	v_fmac_f64_e32 v[46:47], v[44:45], v[154:155]
	v_fmac_f64_e32 v[12:13], v[6:7], v[6:7]
	;; [unrolled: 1-line block ×5, first 2 shown]
	v_accvgpr_read_b32 v15, a11
	v_fmac_f64_e32 v[12:13], v[8:9], v[8:9]
	v_accvgpr_read_b32 v14, a10
	v_fmac_f64_e32 v[80:81], v[100:101], v[12:13]
	v_mul_f64 v[12:13], v[10:11], v[4:5]
	v_accvgpr_write_b32 a10, v68
	v_fmac_f64_e32 v[12:13], v[6:7], v[246:247]
	v_accvgpr_write_b32 a11, v69
	v_accvgpr_read_b32 v68, a157            ;  Reload Reuse
	v_fmac_f64_e32 v[12:13], v[8:9], v[248:249]
	v_accvgpr_read_b32 v69, a156            ;  Reload Reuse
	v_fmac_f64_e32 v[68:69], v[100:101], v[12:13]
	v_mul_f64 v[12:13], v[10:11], v[232:233]
	v_accvgpr_read_b32 v57, a53
	v_fmac_f64_e32 v[12:13], v[6:7], v[240:241]
	v_accvgpr_read_b32 v56, a52
	v_fmac_f64_e32 v[12:13], v[8:9], v[242:243]
	v_fmac_f64_e32 v[56:57], v[100:101], v[12:13]
	v_mul_f64 v[12:13], v[10:11], v[238:239]
	v_accvgpr_read_b32 v43, a39
	v_fmac_f64_e32 v[12:13], v[6:7], v[204:205]
	v_accvgpr_read_b32 v42, a38
	v_fmac_f64_e32 v[12:13], v[8:9], v[236:237]
	v_fmac_f64_e32 v[42:43], v[100:101], v[12:13]
	v_mul_f64 v[12:13], v[10:11], v[196:197]
	v_mul_f64 v[10:11], v[10:11], v[172:173]
	v_fmac_f64_e32 v[12:13], v[6:7], v[190:191]
	v_fmac_f64_e32 v[10:11], v[6:7], v[166:167]
	;; [unrolled: 1-line block ×4, first 2 shown]
	v_accvgpr_read_b32 v9, a5
	v_accvgpr_read_b32 v8, a4
	v_mul_f64 v[6:7], v[4:5], v[4:5]
	v_accvgpr_write_b32 a4, v66
	v_fmac_f64_e32 v[6:7], v[246:247], v[246:247]
	v_accvgpr_write_b32 a5, v67
	v_accvgpr_read_b32 v66, a159            ;  Reload Reuse
	v_fmac_f64_e32 v[6:7], v[248:249], v[248:249]
	v_accvgpr_read_b32 v67, a158            ;  Reload Reuse
	v_fmac_f64_e32 v[66:67], v[100:101], v[6:7]
	v_mul_f64 v[6:7], v[4:5], v[232:233]
	v_fma_f64 v[164:165], v[52:53], -v[70:71], v[62:63]
	v_fma_f64 v[114:115], v[52:53], -s[6:7], v[114:115]
	v_fmac_f64_e32 v[104:105], v[70:71], v[52:53]
	v_fmac_f64_e32 v[254:255], s[6:7], v[52:53]
	v_accvgpr_read_b32 v53, a49
	v_fmac_f64_e32 v[6:7], v[246:247], v[240:241]
	v_accvgpr_read_b32 v52, a48
	v_fmac_f64_e32 v[6:7], v[248:249], v[242:243]
	v_fmac_f64_e32 v[52:53], v[100:101], v[6:7]
	v_mul_f64 v[6:7], v[4:5], v[238:239]
	v_fmac_f64_e32 v[40:41], v[38:39], v[154:155]
	v_accvgpr_read_b32 v39, a35
	v_fmac_f64_e32 v[6:7], v[246:247], v[204:205]
	v_accvgpr_read_b32 v38, a34
	v_fmac_f64_e32 v[6:7], v[248:249], v[236:237]
	v_fmac_f64_e32 v[38:39], v[100:101], v[6:7]
	v_mul_f64 v[6:7], v[4:5], v[196:197]
	v_mul_f64 v[4:5], v[4:5], v[172:173]
	v_fmac_f64_e32 v[4:5], v[246:247], v[166:167]
	v_fmac_f64_e32 v[4:5], v[248:249], v[154:155]
	;; [unrolled: 1-line block ×3, first 2 shown]
	v_mul_f64 v[4:5], v[232:233], v[232:233]
	v_fmac_f64_e32 v[48:49], v[44:45], v[194:195]
	v_accvgpr_read_b32 v47, a43
	v_fmac_f64_e32 v[4:5], v[240:241], v[240:241]
	v_fmac_f64_e32 v[82:83], v[100:101], v[48:49]
	v_accvgpr_read_b32 v49, a45
	v_accvgpr_read_b32 v46, a42
	v_fmac_f64_e32 v[4:5], v[242:243], v[242:243]
	v_accvgpr_read_b32 v48, a44
	v_fmac_f64_e32 v[34:35], v[32:33], v[154:155]
	v_fmac_f64_e32 v[46:47], v[100:101], v[4:5]
	v_mul_f64 v[4:5], v[232:233], v[238:239]
	v_fmac_f64_e32 v[48:49], v[100:101], v[34:35]
	v_accvgpr_read_b32 v35, a31
	v_fmac_f64_e32 v[4:5], v[240:241], v[204:205]
	v_fmac_f64_e32 v[36:37], v[32:33], v[194:195]
	v_accvgpr_read_b32 v33, a29
	v_accvgpr_read_b32 v34, a30
	v_fmac_f64_e32 v[4:5], v[242:243], v[236:237]
	v_fmac_f64_e32 v[162:163], s[14:15], v[54:55]
	;; [unrolled: 1-line block ×7, first 2 shown]
	v_accvgpr_read_b32 v55, a51
	v_accvgpr_read_b32 v32, a28
	v_fmac_f64_e32 v[22:23], v[20:21], v[154:155]
	v_fmac_f64_e32 v[34:35], v[100:101], v[4:5]
	v_mul_f64 v[4:5], v[232:233], v[196:197]
	v_accvgpr_read_b32 v54, a50
	v_fmac_f64_e32 v[32:33], v[100:101], v[22:23]
	v_accvgpr_read_b32 v23, a19
	v_fmac_f64_e32 v[4:5], v[240:241], v[190:191]
	v_fmac_f64_e32 v[54:55], v[100:101], v[30:31]
	v_accvgpr_read_b32 v31, a27
	v_accvgpr_read_b32 v22, a18
	v_fmac_f64_e32 v[4:5], v[242:243], v[194:195]
	v_accvgpr_read_b32 v61, a57
	v_accvgpr_read_b32 v30, a26
	v_fmac_f64_e32 v[22:23], v[100:101], v[4:5]
	v_mul_f64 v[4:5], v[232:233], v[172:173]
	v_accvgpr_read_b32 v60, a56
	v_fmac_f64_e32 v[30:31], v[100:101], v[12:13]
	v_accvgpr_read_b32 v13, a9
	v_fmac_f64_e32 v[4:5], v[240:241], v[166:167]
	v_fmac_f64_e32 v[60:61], v[100:101], v[40:41]
	v_accvgpr_read_b32 v41, a37
	v_accvgpr_read_b32 v12, a8
	v_fmac_f64_e32 v[4:5], v[242:243], v[154:155]
	v_accvgpr_read_b32 v63, a59
	v_accvgpr_read_b32 v40, a36
	v_fmac_f64_e32 v[12:13], v[100:101], v[4:5]
	v_mul_f64 v[4:5], v[238:239], v[238:239]
	v_accvgpr_read_b32 v62, a58
	v_fmac_f64_e32 v[40:41], v[100:101], v[28:29]
	v_accvgpr_read_b32 v29, a25
	v_fmac_f64_e32 v[4:5], v[204:205], v[204:205]
	v_fmac_f64_e32 v[62:63], v[100:101], v[36:37]
	v_accvgpr_read_b32 v37, a33
	v_accvgpr_read_b32 v28, a24
	v_fmac_f64_e32 v[4:5], v[236:237], v[236:237]
	v_accvgpr_read_b32 v36, a32
	v_fmac_f64_e32 v[28:29], v[100:101], v[4:5]
	v_mul_f64 v[4:5], v[238:239], v[196:197]
	v_fmac_f64_e32 v[36:37], v[100:101], v[18:19]
	v_accvgpr_read_b32 v19, a15
	v_fmac_f64_e32 v[4:5], v[204:205], v[190:191]
	v_fmac_f64_e32 v[24:25], v[20:21], v[194:195]
	v_accvgpr_read_b32 v21, a17
	v_accvgpr_read_b32 v18, a14
	v_fmac_f64_e32 v[4:5], v[236:237], v[194:195]
	v_accvgpr_read_b32 v45, a41
	v_accvgpr_read_b32 v20, a16
	v_fmac_f64_e32 v[18:19], v[100:101], v[4:5]
	v_mul_f64 v[4:5], v[238:239], v[172:173]
	v_accvgpr_read_b32 v44, a40
	v_fmac_f64_e32 v[20:21], v[100:101], v[10:11]
	v_accvgpr_read_b32 v11, a7
	v_fmac_f64_e32 v[4:5], v[204:205], v[166:167]
	v_fmac_f64_e32 v[44:45], v[100:101], v[24:25]
	v_accvgpr_read_b32 v25, a21
	v_accvgpr_read_b32 v10, a6
	v_fmac_f64_e32 v[4:5], v[236:237], v[154:155]
	v_accvgpr_read_b32 v24, a20
	v_fmac_f64_e32 v[10:11], v[100:101], v[4:5]
	v_mul_f64 v[4:5], v[196:197], v[196:197]
	v_fmac_f64_e32 v[24:25], v[100:101], v[16:17]
	v_accvgpr_read_b32 v17, a13
	v_fmac_f64_e32 v[4:5], v[190:191], v[190:191]
	v_accvgpr_read_b32 v16, a12
	v_fmac_f64_e32 v[4:5], v[194:195], v[194:195]
	v_fmac_f64_e32 v[16:17], v[100:101], v[4:5]
	v_mul_f64 v[4:5], v[196:197], v[172:173]
	v_fmac_f64_e32 v[4:5], v[190:191], v[166:167]
	v_fmac_f64_e32 v[6:7], v[246:247], v[190:191]
	;; [unrolled: 1-line block ×5, first 2 shown]
	v_mul_f64 v[4:5], v[172:173], v[172:173]
	v_fmac_f64_e32 v[26:27], v[100:101], v[6:7]
	v_accvgpr_read_b32 v7, a3
	v_fmac_f64_e32 v[4:5], v[166:167], v[166:167]
	v_accvgpr_read_b32 v6, a2
	v_fmac_f64_e32 v[4:5], v[154:155], v[154:155]
	v_fmac_f64_e32 v[6:7], v[100:101], v[4:5]
	v_mul_f64 v[4:5], v[2:3], v[2:3]
	v_fmac_f64_e32 v[4:5], v[234:235], v[234:235]
	v_fmac_f64_e32 v[4:5], v[244:245], v[244:245]
	v_fmac_f64_e32 v[230:231], v[100:101], v[4:5]
	v_mul_f64 v[4:5], v[2:3], v[188:189]
	v_fmac_f64_e32 v[4:5], v[234:235], v[178:179]
	;; [unrolled: 4-line block ×10, first 2 shown]
	v_fmac_f64_e32 v[4:5], v[244:245], v[112:113]
	v_accvgpr_write_b32 a157, v68           ;  Reload Reuse
	v_fmac_f64_e32 v[94:95], v[100:101], v[4:5]
	v_mul_f64 v[4:5], v[2:3], v[104:105]
	v_mul_f64 v[2:3], v[2:3], v[254:255]
	v_accvgpr_write_b32 a156, v69           ;  Reload Reuse
	v_accvgpr_read_b32 v69, a11
	v_fmac_f64_e32 v[2:3], v[234:235], v[252:253]
	v_accvgpr_read_b32 v68, a10
	v_fmac_f64_e32 v[2:3], v[244:245], v[250:251]
	v_fmac_f64_e32 v[68:69], v[100:101], v[2:3]
	v_mul_f64 v[2:3], v[188:189], v[188:189]
	v_fmac_f64_e32 v[2:3], v[178:179], v[178:179]
	v_fmac_f64_e32 v[2:3], v[184:185], v[184:185]
	v_fmac_f64_e32 v[226:227], v[100:101], v[2:3]
	v_mul_f64 v[2:3], v[188:189], v[162:163]
	v_fmac_f64_e32 v[2:3], v[178:179], v[158:159]
	v_fmac_f64_e32 v[2:3], v[184:185], v[160:161]
	v_fmac_f64_e32 v[222:223], v[100:101], v[2:3]
	v_mul_f64 v[2:3], v[188:189], v[152:153]
	v_fmac_f64_e32 v[2:3], v[178:179], v[148:149]
	v_fmac_f64_e32 v[2:3], v[184:185], v[150:151]
	v_fmac_f64_e32 v[216:217], v[100:101], v[2:3]
	v_mul_f64 v[2:3], v[188:189], v[144:145]
	v_fmac_f64_e32 v[2:3], v[178:179], v[140:141]
	v_fmac_f64_e32 v[2:3], v[184:185], v[142:143]
	v_fmac_f64_e32 v[210:211], v[100:101], v[2:3]
	v_mul_f64 v[2:3], v[188:189], v[136:137]
	v_fmac_f64_e32 v[2:3], v[178:179], v[128:129]
	v_fmac_f64_e32 v[2:3], v[184:185], v[134:135]
	v_fmac_f64_e32 v[200:201], v[100:101], v[2:3]
	v_mul_f64 v[2:3], v[188:189], v[126:127]
	v_fmac_f64_e32 v[2:3], v[178:179], v[122:123]
	v_fmac_f64_e32 v[2:3], v[184:185], v[124:125]
	v_fmac_f64_e32 v[174:175], v[100:101], v[2:3]
	v_mul_f64 v[2:3], v[188:189], v[186:187]
	v_fmac_f64_e32 v[2:3], v[178:179], v[176:177]
	v_fmac_f64_e32 v[2:3], v[184:185], v[180:181]
	v_fmac_f64_e32 v[138:139], v[100:101], v[2:3]
	v_mul_f64 v[2:3], v[188:189], v[164:165]
	v_fmac_f64_e32 v[2:3], v[178:179], v[116:117]
	v_fmac_f64_e32 v[2:3], v[184:185], v[120:121]
	v_fmac_f64_e32 v[98:99], v[100:101], v[2:3]
	v_mul_f64 v[2:3], v[188:189], v[114:115]
	v_fmac_f64_e32 v[2:3], v[178:179], v[108:109]
	v_fmac_f64_e32 v[2:3], v[184:185], v[112:113]
	v_accvgpr_write_b32 a155, v72           ;  Reload Reuse
	v_fmac_f64_e32 v[86:87], v[100:101], v[2:3]
	v_mul_f64 v[2:3], v[188:189], v[104:105]
	v_accvgpr_write_b32 a154, v73           ;  Reload Reuse
	v_accvgpr_read_b32 v73, a23
	v_fmac_f64_e32 v[2:3], v[178:179], v[0:1]
	v_accvgpr_read_b32 v72, a22
	v_fmac_f64_e32 v[2:3], v[184:185], v[102:103]
	v_fmac_f64_e32 v[72:73], v[100:101], v[2:3]
	v_mul_f64 v[2:3], v[188:189], v[254:255]
	v_fmac_f64_e32 v[2:3], v[178:179], v[252:253]
	v_fmac_f64_e32 v[2:3], v[184:185], v[250:251]
	v_fmac_f64_e32 v[60:61], v[100:101], v[2:3]
	v_mul_f64 v[2:3], v[162:163], v[162:163]
	v_fmac_f64_e32 v[2:3], v[158:159], v[158:159]
	;; [unrolled: 4-line block ×17, first 2 shown]
	v_fmac_f64_e32 v[2:3], v[150:151], v[120:121]
	v_accvgpr_write_b32 a159, v66           ;  Reload Reuse
	v_fmac_f64_e32 v[78:79], v[100:101], v[2:3]
	v_mul_f64 v[2:3], v[152:153], v[114:115]
	v_accvgpr_write_b32 a158, v67           ;  Reload Reuse
	v_accvgpr_read_b32 v67, a5
	v_fmac_f64_e32 v[2:3], v[148:149], v[108:109]
	v_accvgpr_read_b32 v66, a4
	v_fmac_f64_e32 v[2:3], v[150:151], v[112:113]
	v_fmac_f64_e32 v[66:67], v[100:101], v[2:3]
	v_mul_f64 v[2:3], v[152:153], v[104:105]
	v_fmac_f64_e32 v[2:3], v[148:149], v[0:1]
	v_fmac_f64_e32 v[2:3], v[150:151], v[102:103]
	v_fmac_f64_e32 v[54:55], v[100:101], v[2:3]
	v_mul_f64 v[2:3], v[152:153], v[254:255]
	v_fmac_f64_e32 v[2:3], v[148:149], v[252:253]
	;; [unrolled: 4-line block ×6, first 2 shown]
	v_fmac_f64_e32 v[2:3], v[142:143], v[180:181]
	v_fmac_f64_e32 v[84:85], v[100:101], v[2:3]
	v_mul_f64 v[2:3], v[144:145], v[164:165]
	v_accvgpr_read_b32 v166, a155           ;  Reload Reuse
	v_fmac_f64_e32 v[2:3], v[140:141], v[116:117]
	v_accvgpr_read_b32 v167, a154           ;  Reload Reuse
	v_fmac_f64_e32 v[2:3], v[142:143], v[120:121]
	v_fmac_f64_e32 v[166:167], v[100:101], v[2:3]
	v_mul_f64 v[2:3], v[144:145], v[114:115]
	v_fmac_f64_e32 v[2:3], v[140:141], v[108:109]
	v_fmac_f64_e32 v[2:3], v[142:143], v[112:113]
	v_fmac_f64_e32 v[58:59], v[100:101], v[2:3]
	v_mul_f64 v[2:3], v[144:145], v[104:105]
	v_fmac_f64_e32 v[2:3], v[140:141], v[0:1]
	;; [unrolled: 4-line block ×11, first 2 shown]
	v_fmac_f64_e32 v[2:3], v[124:125], v[124:125]
	v_fmac_f64_e32 v[80:81], v[100:101], v[2:3]
	v_mul_f64 v[2:3], v[126:127], v[186:187]
	v_accvgpr_read_b32 v128, a157           ;  Reload Reuse
	v_fmac_f64_e32 v[2:3], v[122:123], v[176:177]
	v_accvgpr_read_b32 v129, a156           ;  Reload Reuse
	v_fmac_f64_e32 v[2:3], v[124:125], v[180:181]
	v_fmac_f64_e32 v[128:129], v[100:101], v[2:3]
	v_mul_f64 v[2:3], v[126:127], v[164:165]
	v_fmac_f64_e32 v[2:3], v[122:123], v[116:117]
	v_fmac_f64_e32 v[2:3], v[124:125], v[120:121]
	v_fmac_f64_e32 v[56:57], v[100:101], v[2:3]
	v_mul_f64 v[2:3], v[126:127], v[114:115]
	v_fmac_f64_e32 v[2:3], v[122:123], v[108:109]
	;; [unrolled: 4-line block ×4, first 2 shown]
	v_fmac_f64_e32 v[4:5], v[234:235], v[0:1]
	v_fmac_f64_e32 v[2:3], v[124:125], v[250:251]
	;; [unrolled: 1-line block ×4, first 2 shown]
	v_mul_f64 v[2:3], v[186:187], v[186:187]
	v_fmac_f64_e32 v[82:83], v[100:101], v[4:5]
	v_accvgpr_read_b32 v4, a159             ;  Reload Reuse
	v_fmac_f64_e32 v[2:3], v[176:177], v[176:177]
	v_accvgpr_read_b32 v5, a158             ;  Reload Reuse
	v_fmac_f64_e32 v[2:3], v[180:181], v[180:181]
	v_fmac_f64_e32 v[4:5], v[100:101], v[2:3]
	v_mul_f64 v[2:3], v[186:187], v[164:165]
	v_fmac_f64_e32 v[2:3], v[176:177], v[116:117]
	v_fmac_f64_e32 v[2:3], v[180:181], v[120:121]
	v_fmac_f64_e32 v[52:53], v[100:101], v[2:3]
	v_mul_f64 v[2:3], v[186:187], v[114:115]
	v_fmac_f64_e32 v[2:3], v[176:177], v[108:109]
	v_fmac_f64_e32 v[2:3], v[180:181], v[112:113]
	v_fmac_f64_e32 v[38:39], v[100:101], v[2:3]
	v_mul_f64 v[2:3], v[186:187], v[104:105]
	v_fmac_f64_e32 v[2:3], v[176:177], v[0:1]
	v_fmac_f64_e32 v[2:3], v[180:181], v[102:103]
	v_fmac_f64_e32 v[26:27], v[100:101], v[2:3]
	v_mul_f64 v[2:3], v[186:187], v[254:255]
	v_fmac_f64_e32 v[2:3], v[176:177], v[252:253]
	v_fmac_f64_e32 v[2:3], v[180:181], v[250:251]
	v_fmac_f64_e32 v[14:15], v[100:101], v[2:3]
	v_mul_f64 v[2:3], v[164:165], v[164:165]
	v_fmac_f64_e32 v[2:3], v[116:117], v[116:117]
	v_fmac_f64_e32 v[2:3], v[120:121], v[120:121]
	v_fmac_f64_e32 v[46:47], v[100:101], v[2:3]
	v_mul_f64 v[2:3], v[164:165], v[114:115]
	v_fmac_f64_e32 v[2:3], v[116:117], v[108:109]
	v_fmac_f64_e32 v[2:3], v[120:121], v[112:113]
	v_fmac_f64_e32 v[34:35], v[100:101], v[2:3]
	v_mul_f64 v[2:3], v[164:165], v[104:105]
	v_fmac_f64_e32 v[2:3], v[116:117], v[0:1]
	v_fmac_f64_e32 v[2:3], v[120:121], v[102:103]
	v_fmac_f64_e32 v[22:23], v[100:101], v[2:3]
	v_mul_f64 v[2:3], v[164:165], v[254:255]
	v_fmac_f64_e32 v[2:3], v[116:117], v[252:253]
	v_fmac_f64_e32 v[2:3], v[120:121], v[250:251]
	v_fmac_f64_e32 v[12:13], v[100:101], v[2:3]
	v_mul_f64 v[2:3], v[114:115], v[114:115]
	v_fmac_f64_e32 v[2:3], v[108:109], v[108:109]
	v_fmac_f64_e32 v[2:3], v[112:113], v[112:113]
	v_fmac_f64_e32 v[28:29], v[100:101], v[2:3]
	v_mul_f64 v[2:3], v[114:115], v[104:105]
	v_fmac_f64_e32 v[2:3], v[108:109], v[0:1]
	v_fmac_f64_e32 v[2:3], v[112:113], v[102:103]
	v_fmac_f64_e32 v[18:19], v[100:101], v[2:3]
	v_mul_f64 v[2:3], v[114:115], v[254:255]
	v_fmac_f64_e32 v[2:3], v[108:109], v[252:253]
	v_fmac_f64_e32 v[2:3], v[112:113], v[250:251]
	v_fmac_f64_e32 v[10:11], v[100:101], v[2:3]
	v_mul_f64 v[2:3], v[104:105], v[104:105]
	v_fmac_f64_e32 v[2:3], v[0:1], v[0:1]
	v_fmac_f64_e32 v[2:3], v[102:103], v[102:103]
	v_fmac_f64_e32 v[16:17], v[100:101], v[2:3]
	v_mul_f64 v[2:3], v[104:105], v[254:255]
	v_fmac_f64_e32 v[2:3], v[0:1], v[252:253]
	v_mul_f64 v[0:1], v[254:255], v[254:255]
	v_fmac_f64_e32 v[0:1], v[252:253], v[252:253]
	v_fmac_f64_e32 v[2:3], v[102:103], v[250:251]
	;; [unrolled: 1-line block ×3, first 2 shown]
	v_accvgpr_read_b32 v155, a121
	v_accvgpr_read_b32 v163, a129
	;; [unrolled: 1-line block ×21, first 2 shown]
	v_fmac_f64_e32 v[8:9], v[100:101], v[2:3]
	v_accvgpr_read_b32 v2, a84
	v_fmac_f64_e32 v[6:7], v[100:101], v[0:1]
	v_accvgpr_read_b32 v101, a79
	v_accvgpr_read_b32 v154, a120
	;; [unrolled: 1-line block ×21, first 2 shown]
	v_accvgpr_read_b32 v104, a153           ;  Reload Reuse
	v_accvgpr_read_b32 v102, a80
	v_accvgpr_read_b32 v3, a85
	;; [unrolled: 1-line block ×3, first 2 shown]
	s_mov_b64 s[14:15], 0
	s_and_b64 vcc, exec, s[0:1]
	s_mov_b32 s0, 1
	v_accvgpr_read_b32 v105, a152           ;  Reload Reuse
	s_cbranch_vccz .LBB0_4
; %bb.5:                                ;   in Loop: Header=BB0_3 Depth=2
	s_mov_b32 s12, 1
	s_mov_b64 s[0:1], 0
	s_and_b64 vcc, exec, s[10:11]
	s_cbranch_vccz .LBB0_3
; %bb.6:                                ;   in Loop: Header=BB0_2 Depth=1
	s_mov_b32 s7, 1
	s_andn2_b64 vcc, exec, s[4:5]
	s_cbranch_vccnz .LBB0_2
; %bb.7:
	v_add_f64 v[0:1], v[230:231], 0
	v_add_f64 v[0:1], v[0:1], v[228:229]
	;; [unrolled: 1-line block ×154, first 2 shown]
	v_accvgpr_read_b32 v5, a1
	v_add_f64 v[2:3], v[2:3], v[6:7]
	v_accvgpr_read_b32 v4, a0
	v_add_f64 v[0:1], v[0:1], v[2:3]
	v_mov_b32_e32 v3, s9
	v_add_co_u32_e32 v2, vcc, s8, v4
	v_addc_co_u32_e32 v3, vcc, v3, v5, vcc
	global_store_dwordx2 v[2:3], v[0:1], off
.LBB0_8:
	s_endpgm
	.section	.rodata,"a",@progbits
	.p2align	6, 0x0
	.amdhsa_kernel _ZN8rajaperf4apps6edge3dILm256EEEvPdS2_S2_S2_S2_S2_S2_S2_S2_S2_S2_S2_S2_S2_S2_S2_S2_S2_S2_S2_S2_S2_S2_S2_S2_ll
		.amdhsa_group_segment_fixed_size 0
		.amdhsa_private_segment_fixed_size 0
		.amdhsa_kernarg_size 216
		.amdhsa_user_sgpr_count 6
		.amdhsa_user_sgpr_private_segment_buffer 1
		.amdhsa_user_sgpr_dispatch_ptr 0
		.amdhsa_user_sgpr_queue_ptr 0
		.amdhsa_user_sgpr_kernarg_segment_ptr 1
		.amdhsa_user_sgpr_dispatch_id 0
		.amdhsa_user_sgpr_flat_scratch_init 0
		.amdhsa_user_sgpr_kernarg_preload_length 0
		.amdhsa_user_sgpr_kernarg_preload_offset 0
		.amdhsa_user_sgpr_private_segment_size 0
		.amdhsa_uses_dynamic_stack 0
		.amdhsa_system_sgpr_private_segment_wavefront_offset 0
		.amdhsa_system_sgpr_workgroup_id_x 1
		.amdhsa_system_sgpr_workgroup_id_y 0
		.amdhsa_system_sgpr_workgroup_id_z 0
		.amdhsa_system_sgpr_workgroup_info 0
		.amdhsa_system_vgpr_workitem_id 0
		.amdhsa_next_free_vgpr 416
		.amdhsa_next_free_sgpr 68
		.amdhsa_accum_offset 256
		.amdhsa_reserve_vcc 1
		.amdhsa_reserve_flat_scratch 0
		.amdhsa_float_round_mode_32 0
		.amdhsa_float_round_mode_16_64 0
		.amdhsa_float_denorm_mode_32 3
		.amdhsa_float_denorm_mode_16_64 3
		.amdhsa_dx10_clamp 1
		.amdhsa_ieee_mode 1
		.amdhsa_fp16_overflow 0
		.amdhsa_tg_split 0
		.amdhsa_exception_fp_ieee_invalid_op 0
		.amdhsa_exception_fp_denorm_src 0
		.amdhsa_exception_fp_ieee_div_zero 0
		.amdhsa_exception_fp_ieee_overflow 0
		.amdhsa_exception_fp_ieee_underflow 0
		.amdhsa_exception_fp_ieee_inexact 0
		.amdhsa_exception_int_div_zero 0
	.end_amdhsa_kernel
	.section	.text._ZN8rajaperf4apps6edge3dILm256EEEvPdS2_S2_S2_S2_S2_S2_S2_S2_S2_S2_S2_S2_S2_S2_S2_S2_S2_S2_S2_S2_S2_S2_S2_S2_ll,"axG",@progbits,_ZN8rajaperf4apps6edge3dILm256EEEvPdS2_S2_S2_S2_S2_S2_S2_S2_S2_S2_S2_S2_S2_S2_S2_S2_S2_S2_S2_S2_S2_S2_S2_S2_ll,comdat
.Lfunc_end0:
	.size	_ZN8rajaperf4apps6edge3dILm256EEEvPdS2_S2_S2_S2_S2_S2_S2_S2_S2_S2_S2_S2_S2_S2_S2_S2_S2_S2_S2_S2_S2_S2_S2_S2_ll, .Lfunc_end0-_ZN8rajaperf4apps6edge3dILm256EEEvPdS2_S2_S2_S2_S2_S2_S2_S2_S2_S2_S2_S2_S2_S2_S2_S2_S2_S2_S2_S2_S2_S2_S2_S2_ll
                                        ; -- End function
	.section	.AMDGPU.csdata,"",@progbits
; Kernel info:
; codeLenInByte = 10740
; NumSgprs: 72
; NumVgprs: 256
; NumAgprs: 160
; TotalNumVgprs: 416
; ScratchSize: 0
; MemoryBound: 0
; FloatMode: 240
; IeeeMode: 1
; LDSByteSize: 0 bytes/workgroup (compile time only)
; SGPRBlocks: 8
; VGPRBlocks: 51
; NumSGPRsForWavesPerEU: 72
; NumVGPRsForWavesPerEU: 416
; AccumOffset: 256
; Occupancy: 1
; WaveLimiterHint : 0
; COMPUTE_PGM_RSRC2:SCRATCH_EN: 0
; COMPUTE_PGM_RSRC2:USER_SGPR: 6
; COMPUTE_PGM_RSRC2:TRAP_HANDLER: 0
; COMPUTE_PGM_RSRC2:TGID_X_EN: 1
; COMPUTE_PGM_RSRC2:TGID_Y_EN: 0
; COMPUTE_PGM_RSRC2:TGID_Z_EN: 0
; COMPUTE_PGM_RSRC2:TIDIG_COMP_CNT: 0
; COMPUTE_PGM_RSRC3_GFX90A:ACCUM_OFFSET: 63
; COMPUTE_PGM_RSRC3_GFX90A:TG_SPLIT: 0
	.section	.text._ZN8rajaperf17lambda_hip_forallILm256EZNS_4apps6EDGE3D17runHipVariantImplILm256EEEvNS_9VariantIDEEUllE_EEvllT0_,"axG",@progbits,_ZN8rajaperf17lambda_hip_forallILm256EZNS_4apps6EDGE3D17runHipVariantImplILm256EEEvNS_9VariantIDEEUllE_EEvllT0_,comdat
	.protected	_ZN8rajaperf17lambda_hip_forallILm256EZNS_4apps6EDGE3D17runHipVariantImplILm256EEEvNS_9VariantIDEEUllE_EEvllT0_ ; -- Begin function _ZN8rajaperf17lambda_hip_forallILm256EZNS_4apps6EDGE3D17runHipVariantImplILm256EEEvNS_9VariantIDEEUllE_EEvllT0_
	.globl	_ZN8rajaperf17lambda_hip_forallILm256EZNS_4apps6EDGE3D17runHipVariantImplILm256EEEvNS_9VariantIDEEUllE_EEvllT0_
	.p2align	8
	.type	_ZN8rajaperf17lambda_hip_forallILm256EZNS_4apps6EDGE3D17runHipVariantImplILm256EEEvNS_9VariantIDEEUllE_EEvllT0_,@function
_ZN8rajaperf17lambda_hip_forallILm256EZNS_4apps6EDGE3D17runHipVariantImplILm256EEEvNS_9VariantIDEEUllE_EEvllT0_: ; @_ZN8rajaperf17lambda_hip_forallILm256EZNS_4apps6EDGE3D17runHipVariantImplILm256EEEvNS_9VariantIDEEUllE_EEvllT0_
; %bb.0:
	s_load_dwordx4 s[0:3], s[4:5], 0x0
	s_mov_b32 s7, 0
	s_lshl_b64 s[6:7], s[6:7], 8
	s_waitcnt lgkmcnt(0)
	s_add_u32 s0, s6, s0
	s_addc_u32 s1, s7, s1
	v_mov_b32_e32 v1, s1
	v_add_co_u32_e32 v0, vcc, s0, v0
	v_addc_co_u32_e32 v1, vcc, 0, v1, vcc
	v_cmp_gt_i64_e32 vcc, s[2:3], v[0:1]
	s_and_saveexec_b64 s[0:1], vcc
	s_cbranch_execz .LBB1_10
; %bb.1:
	s_load_dwordx16 s[36:51], s[4:5], 0x10
	s_load_dwordx16 s[12:27], s[4:5], 0x50
	v_lshlrev_b64 v[62:63], 3, v[0:1]
	s_load_dwordx2 s[2:3], s[4:5], 0xd0
	v_accvgpr_write_b32 a0, v62
	s_waitcnt lgkmcnt(0)
	v_mov_b32_e32 v1, s37
	v_add_co_u32_e32 v0, vcc, s36, v62
	v_addc_co_u32_e32 v1, vcc, v1, v63, vcc
	v_mov_b32_e32 v3, s39
	v_add_co_u32_e32 v2, vcc, s38, v62
	v_addc_co_u32_e32 v3, vcc, v3, v63, vcc
	;; [unrolled: 3-line block ×13, first 2 shown]
	global_load_dwordx2 v[0:1], v[0:1], off
	v_mov_b32_e32 v27, s23
	global_load_dwordx2 v[8:9], v[8:9], off
	v_add_co_u32_e32 v26, vcc, s22, v62
	v_addc_co_u32_e32 v27, vcc, v27, v63, vcc
	s_load_dwordx16 s[8:23], s[4:5], 0x90
	global_load_dwordx2 v[2:3], v[2:3], off
	v_mov_b32_e32 v29, s25
	global_load_dwordx2 v[10:11], v[10:11], off
	v_add_co_u32_e32 v28, vcc, s24, v62
	v_addc_co_u32_e32 v29, vcc, v29, v63, vcc
	global_load_dwordx2 v[4:5], v[4:5], off
	v_mov_b32_e32 v31, s27
	global_load_dwordx2 v[12:13], v[12:13], off
	v_add_co_u32_e32 v30, vcc, s26, v62
	v_addc_co_u32_e32 v31, vcc, v31, v63, vcc
	global_load_dwordx2 v[6:7], v[6:7], off
	s_waitcnt lgkmcnt(0)
	v_mov_b32_e32 v33, s9
	global_load_dwordx2 v[14:15], v[14:15], off
	v_add_co_u32_e32 v32, vcc, s8, v62
	v_addc_co_u32_e32 v33, vcc, v33, v63, vcc
	global_load_dwordx2 v[16:17], v[16:17], off
	v_mov_b32_e32 v35, s11
	global_load_dwordx2 v[24:25], v[24:25], off
	v_add_co_u32_e32 v34, vcc, s10, v62
	v_addc_co_u32_e32 v35, vcc, v35, v63, vcc
	global_load_dwordx2 v[18:19], v[18:19], off
	;; [unrolled: 5-line block ×4, first 2 shown]
	v_mov_b32_e32 v41, s17
	global_load_dwordx2 v[30:31], v[30:31], off
	v_add_co_u32_e32 v40, vcc, s16, v62
	v_addc_co_u32_e32 v41, vcc, v41, v63, vcc
	v_mov_b32_e32 v43, s19
	v_add_co_u32_e32 v42, vcc, s18, v62
	v_addc_co_u32_e32 v43, vcc, v43, v63, vcc
	v_mov_b32_e32 v45, s21
	;; [unrolled: 3-line block ×3, first 2 shown]
	global_load_dwordx2 v[46:47], v[34:35], off
	global_load_dwordx2 v[48:49], v[42:43], off
	;; [unrolled: 1-line block ×7, first 2 shown]
	v_add_co_u32_e32 v32, vcc, s22, v62
	v_addc_co_u32_e32 v33, vcc, v60, v63, vcc
	global_load_dwordx2 v[32:33], v[32:33], off
	s_mov_b32 s4, 0x74df99c7
	s_mov_b32 s5, 0x3fcb0cb1
	;; [unrolled: 1-line block ×4, first 2 shown]
	v_accvgpr_write_b32 a1, v63
	s_mov_b64 s[0:1], -1
	s_mov_b32 s7, 0x358dee7a
	s_mov_b32 s9, 0x3fe93cd3
	s_waitcnt vmcnt(22)
	v_add_f64 v[34:35], v[8:9], -v[0:1]
	v_accvgpr_write_b32 a20, v34
	v_accvgpr_write_b32 a21, v35
	s_mov_b64 s[10:11], s[4:5]
	s_waitcnt vmcnt(20)
	v_add_f64 v[34:35], v[10:11], -v[2:3]
	v_accvgpr_write_b32 a22, v34
	v_accvgpr_write_b32 a23, v35
	v_add_f64 v[60:61], v[10:11], -v[8:9]
	s_waitcnt vmcnt(19)
	v_add_f64 v[42:43], v[4:5], -v[2:3]
	s_waitcnt vmcnt(18)
	v_add_f64 v[34:35], v[12:13], -v[4:5]
	v_accvgpr_write_b32 a24, v34
	v_accvgpr_write_b32 a25, v35
	v_add_f64 v[66:67], v[12:13], -v[10:11]
	s_waitcnt vmcnt(17)
	v_add_f64 v[36:37], v[6:7], -v[0:1]
	v_add_f64 v[40:41], v[4:5], -v[6:7]
	s_waitcnt vmcnt(16)
	v_add_f64 v[34:35], v[14:15], -v[6:7]
	v_accvgpr_write_b32 a26, v34
	v_accvgpr_write_b32 a27, v35
	v_pk_mov_b32 v[6:7], 0, 0
	v_add_f64 v[62:63], v[14:15], -v[8:9]
	v_add_f64 v[64:65], v[12:13], -v[14:15]
	v_pk_mov_b32 v[8:9], v[6:7], v[6:7] op_sel:[0,1]
	s_waitcnt vmcnt(14)
	v_add_f64 v[34:35], v[24:25], -v[16:17]
	v_accvgpr_write_b32 a30, v34
	v_accvgpr_write_b32 a31, v35
	v_pk_mov_b32 v[10:11], v[6:7], v[6:7] op_sel:[0,1]
	v_pk_mov_b32 v[12:13], v[6:7], v[6:7] op_sel:[0,1]
	s_waitcnt vmcnt(13)
	v_add_f64 v[70:71], v[18:19], -v[16:17]
	v_pk_mov_b32 v[72:73], v[6:7], v[6:7] op_sel:[0,1]
	s_waitcnt vmcnt(12)
	v_add_f64 v[34:35], v[26:27], -v[18:19]
	v_accvgpr_write_b32 a34, v34
	v_accvgpr_write_b32 a35, v35
	v_add_f64 v[80:81], v[26:27], -v[24:25]
	v_pk_mov_b32 v[108:109], v[6:7], v[6:7] op_sel:[0,1]
	s_waitcnt vmcnt(11)
	v_add_f64 v[76:77], v[20:21], -v[18:19]
	v_pk_mov_b32 v[18:19], v[6:7], v[6:7] op_sel:[0,1]
	s_waitcnt vmcnt(10)
	v_add_f64 v[34:35], v[28:29], -v[20:21]
	v_accvgpr_write_b32 a37, v35
	v_accvgpr_write_b32 a36, v34
	v_add_f64 v[84:85], v[28:29], -v[26:27]
	;; [unrolled: 9-line block ×3, first 2 shown]
	v_add_f64 v[22:23], v[20:21], -v[22:23]
	v_add_f64 v[82:83], v[30:31], -v[24:25]
	;; [unrolled: 1-line block ×3, first 2 shown]
	v_pk_mov_b32 v[88:89], v[6:7], v[6:7] op_sel:[0,1]
	v_pk_mov_b32 v[124:125], v[6:7], v[6:7] op_sel:[0,1]
	;; [unrolled: 1-line block ×4, first 2 shown]
	s_waitcnt vmcnt(6)
	v_add_f64 v[0:1], v[48:49], -v[46:47]
	v_accvgpr_write_b32 a87, v1
	v_accvgpr_write_b32 a86, v0
	s_waitcnt vmcnt(3)
	v_add_f64 v[0:1], v[54:55], -v[52:53]
	v_accvgpr_write_b32 a99, v1
	v_accvgpr_write_b32 a98, v0
	;; [unrolled: 4-line block ×3, first 2 shown]
	v_add_f64 v[26:27], v[46:47], -v[50:51]
	s_waitcnt vmcnt(0)
	v_add_f64 v[0:1], v[32:33], -v[56:57]
	v_accvgpr_write_b32 a111, v1
	v_add_f64 v[46:47], v[52:53], -v[46:47]
	v_add_f64 v[86:87], v[52:53], -v[56:57]
	;; [unrolled: 1-line block ×3, first 2 shown]
	v_accvgpr_write_b32 a110, v0
	v_add_f64 v[56:57], v[48:49], -v[58:59]
	v_add_f64 v[90:91], v[32:33], -v[58:59]
	;; [unrolled: 1-line block ×4, first 2 shown]
	v_pk_mov_b32 v[52:53], v[6:7], v[6:7] op_sel:[0,1]
	v_pk_mov_b32 v[32:33], v[6:7], v[6:7] op_sel:[0,1]
	;; [unrolled: 1-line block ×65, first 2 shown]
.LBB1_2:                                ; =>This Loop Header: Depth=1
                                        ;     Child Loop BB1_3 Depth 2
                                        ;       Child Loop BB1_4 Depth 3
	s_xor_b64 s[12:13], s[0:1], -1
	v_add_f64 v[142:143], -s[10:11], 1.0
	s_mov_b64 s[0:1], -1
	s_mov_b64 s[14:15], s[4:5]
.LBB1_3:                                ;   Parent Loop BB1_2 Depth=1
                                        ; =>  This Loop Header: Depth=2
                                        ;       Child Loop BB1_4 Depth 3
	v_add_f64 v[2:3], -s[14:15], 1.0
	v_pk_mov_b32 v[0:1], s[14:15], s[14:15] op_sel:[0,1]
	v_mul_f64 v[24:25], s[10:11], v[0:1]
	v_accvgpr_write_b32 a137, v3
	v_accvgpr_read_b32 v0, a22
	v_mul_f64 v[20:21], v[142:143], v[2:3]
	v_accvgpr_write_b32 a136, v2
	v_mul_f64 v[2:3], s[10:11], v[2:3]
	v_accvgpr_read_b32 v1, a23
	v_mul_f64 v[98:99], v[0:1], v[2:3]
	v_accvgpr_read_b32 v0, a20
	v_accvgpr_read_b32 v1, a21
	v_fmac_f64_e32 v[98:99], v[0:1], v[20:21]
	v_accvgpr_read_b32 v0, a24
	v_accvgpr_read_b32 v1, a25
	v_fmac_f64_e32 v[98:99], v[0:1], v[24:25]
	v_accvgpr_read_b32 v0, a26
	v_mul_f64 v[38:39], v[142:143], s[14:15]
	v_accvgpr_read_b32 v1, a27
	v_fmac_f64_e32 v[98:99], v[0:1], v[38:39]
	v_accvgpr_read_b32 v0, a34
	v_accvgpr_write_b32 a147, v99
	v_accvgpr_read_b32 v1, a35
	v_accvgpr_write_b32 a146, v98
	v_mul_f64 v[98:99], v[0:1], v[2:3]
	v_accvgpr_read_b32 v0, a30
	v_accvgpr_read_b32 v1, a31
	v_fmac_f64_e32 v[98:99], v[0:1], v[20:21]
	v_accvgpr_read_b32 v0, a36
	v_accvgpr_read_b32 v1, a37
	v_fmac_f64_e32 v[98:99], v[0:1], v[24:25]
	;; [unrolled: 3-line block ×3, first 2 shown]
	v_accvgpr_read_b32 v0, a86
	v_accvgpr_read_b32 v1, a87
	v_accvgpr_write_b32 a145, v3
	v_accvgpr_write_b32 a144, v2
	v_mul_f64 v[2:3], v[0:1], v[2:3]
	v_accvgpr_read_b32 v0, a102
	v_accvgpr_read_b32 v1, a103
	v_fmac_f64_e32 v[2:3], v[0:1], v[20:21]
	v_accvgpr_read_b32 v0, a98
	v_accvgpr_read_b32 v1, a99
	v_fmac_f64_e32 v[2:3], v[0:1], v[24:25]
	;; [unrolled: 3-line block ×3, first 2 shown]
	v_accvgpr_write_b32 a149, v99
	v_accvgpr_write_b32 a139, v21
	;; [unrolled: 1-line block ×5, first 2 shown]
	s_mov_b64 s[20:21], -1
	s_xor_b64 s[16:17], s[0:1], -1
	v_accvgpr_write_b32 a148, v98
	v_accvgpr_write_b32 a138, v20
	;; [unrolled: 1-line block ×5, first 2 shown]
	s_mov_b64 s[18:19], s[4:5]
.LBB1_4:                                ;   Parent Loop BB1_2 Depth=1
                                        ;     Parent Loop BB1_3 Depth=2
                                        ; =>    This Inner Loop Header: Depth=3
	v_add_f64 v[24:25], -s[18:19], 1.0
	v_accvgpr_read_b32 v98, a136
	v_accvgpr_write_b32 a12, v16
	v_accvgpr_write_b32 a8, v12
	v_accvgpr_read_b32 v99, a137
	v_accvgpr_write_b32 a13, v17
	v_mul_f64 v[16:17], s[14:15], v[24:25]
	v_cndmask_b32_e64 v0, 0, 1, s[20:21]
	v_accvgpr_write_b32 a9, v13
	v_mul_f64 v[12:13], v[98:99], v[24:25]
	v_accvgpr_write_b32 a10, v14
	v_mul_f64 v[20:21], v[22:23], v[16:17]
	v_accvgpr_write_b32 a157, v4            ;  Reload Reuse
	v_cmp_ne_u32_e64 s[0:1], 1, v0
	v_pk_mov_b32 v[0:1], s[18:19], s[18:19] op_sel:[0,1]
	v_accvgpr_write_b32 a2, v6
	v_accvgpr_write_b32 a11, v15
	v_mul_f64 v[14:15], v[98:99], s[18:19]
	v_fmac_f64_e32 v[20:21], v[70:71], v[12:13]
	v_accvgpr_write_b32 a156, v5            ;  Reload Reuse
	v_mul_f64 v[4:5], v[142:143], v[24:25]
	v_accvgpr_write_b32 a3, v7
	v_mul_f64 v[6:7], s[14:15], v[0:1]
	v_accvgpr_write_b32 a6, v10
	v_fmac_f64_e32 v[20:21], v[80:81], v[14:15]
	v_accvgpr_write_b32 a71, v23
	v_accvgpr_write_b32 a83, v31
	;; [unrolled: 1-line block ×4, first 2 shown]
	v_mul_f64 v[10:11], s[10:11], v[24:25]
	v_mul_f64 v[2:3], v[40:41], v[16:17]
	v_fmac_f64_e32 v[20:21], v[30:31], v[6:7]
	v_accvgpr_write_b32 a70, v22
	v_mul_f64 v[22:23], v[86:87], v[16:17]
	v_accvgpr_write_b32 a82, v30
	v_mul_f64 v[30:31], v[74:75], v[4:5]
	v_accvgpr_write_b32 a41, v35
	v_accvgpr_write_b32 a5, v9
	v_mul_f64 v[8:9], v[142:143], s[18:19]
	v_fmac_f64_e32 v[2:3], v[34:35], v[12:13]
	v_fmac_f64_e32 v[22:23], v[26:27], v[12:13]
	v_accvgpr_write_b32 a91, v27
	v_fmac_f64_e32 v[30:31], v[76:77], v[10:11]
	v_accvgpr_write_b32 a40, v34
	v_mul_f64 v[34:35], v[50:51], v[4:5]
	v_accvgpr_write_b32 a153, v100          ;  Reload Reuse
	v_mul_f64 v[38:39], s[10:11], v[0:1]
	v_fmac_f64_e32 v[22:23], v[56:57], v[14:15]
	v_accvgpr_write_b32 a90, v26
	v_mul_f64 v[26:27], v[36:37], v[4:5]
	v_fmac_f64_e32 v[30:31], v[82:83], v[8:9]
	v_fmac_f64_e32 v[34:35], v[46:47], v[10:11]
	v_accvgpr_write_b32 a152, v101          ;  Reload Reuse
	v_fmac_f64_e32 v[22:23], v[94:95], v[6:7]
	v_fmac_f64_e32 v[26:27], v[42:43], v[10:11]
	;; [unrolled: 1-line block ×4, first 2 shown]
	v_accvgpr_write_b32 a14, v18
	v_accvgpr_read_b32 v100, a146
	v_fmac_f64_e32 v[26:27], v[62:63], v[8:9]
	v_fmac_f64_e32 v[34:35], v[54:55], v[38:39]
	v_accvgpr_write_b32 a15, v19
	v_mul_f64 v[18:19], v[30:31], v[22:23]
	v_accvgpr_write_b32 a16, v28
	v_accvgpr_read_b32 v101, a147
	v_fmac_f64_e32 v[2:3], v[60:61], v[14:15]
	v_fmac_f64_e32 v[26:27], v[66:67], v[38:39]
	v_mul_f64 v[0:1], v[20:21], v[34:35]
	v_accvgpr_write_b32 a17, v29
	v_mul_f64 v[28:29], v[100:101], v[18:19]
	v_accvgpr_read_b32 v102, a148
	v_fmac_f64_e32 v[2:3], v[64:65], v[6:7]
	v_fma_f64 v[0:1], v[100:101], v[0:1], -v[28:29]
	v_mul_f64 v[28:29], v[26:27], v[22:23]
	v_accvgpr_read_b32 v103, a149
	v_fmac_f64_e32 v[0:1], v[102:103], v[28:29]
	v_mul_f64 v[28:29], v[2:3], v[34:35]
	v_accvgpr_write_b32 a18, v32
	v_accvgpr_read_b32 v106, a150
	v_fma_f64 v[0:1], -v[102:103], v[28:29], v[0:1]
	v_accvgpr_write_b32 a19, v33
	v_mul_f64 v[32:33], v[26:27], v[20:21]
	v_accvgpr_read_b32 v107, a151
	v_accvgpr_write_b32 a43, v37
	v_fma_f64 v[0:1], -v[106:107], v[32:33], v[0:1]
	v_accvgpr_write_b32 a42, v36
	v_mul_f64 v[36:37], v[2:3], v[30:31]
	v_fmac_f64_e32 v[0:1], v[106:107], v[36:37]
	v_add_f64 v[36:37], v[0:1], s[6:7]
	v_accvgpr_write_b32 a47, v41
	v_accvgpr_write_b32 a46, v40
	v_div_scale_f64 v[40:41], s[20:21], v[36:37], v[36:37], 1.0
	v_accvgpr_write_b32 a51, v43
	v_accvgpr_write_b32 a50, v42
	v_rcp_f64_e32 v[42:43], v[40:41]
	v_accvgpr_write_b32 a28, v44
	v_accvgpr_write_b32 a29, v45
	;; [unrolled: 1-line block ×3, first 2 shown]
	v_fma_f64 v[44:45], -v[40:41], v[42:43], 1.0
	v_fmac_f64_e32 v[42:43], v[42:43], v[44:45]
	v_fma_f64 v[44:45], -v[40:41], v[42:43], 1.0
	v_fmac_f64_e32 v[42:43], v[42:43], v[44:45]
	v_div_scale_f64 v[44:45], vcc, 1.0, v[36:37], 1.0
	v_accvgpr_write_b32 a94, v46
	v_mul_f64 v[46:47], v[44:45], v[42:43]
	v_fma_f64 v[40:41], -v[40:41], v[46:47], v[44:45]
	s_nop 0
	v_div_fmas_f64 v[40:41], v[40:41], v[42:43], v[46:47]
	v_div_fixup_f64 v[36:37], v[40:41], v[36:37], 1.0
	v_fma_f64 v[18:19], v[20:21], v[34:35], -v[18:19]
	v_mul_f64 v[46:47], v[18:19], v[36:37]
	v_mul_f64 v[18:19], v[106:107], v[26:27]
	v_fma_f64 v[18:19], v[100:101], v[34:35], -v[18:19]
	v_accvgpr_write_b32 a107, v51
	v_accvgpr_write_b32 a106, v50
	v_mul_f64 v[50:51], v[18:19], v[36:37]
	v_mul_f64 v[18:19], v[100:101], v[22:23]
	v_fma_f64 v[18:19], v[106:107], v[2:3], -v[18:19]
	v_accvgpr_write_b32 a123, v55
	v_accvgpr_write_b32 a122, v54
	v_mul_f64 v[54:55], v[18:19], v[36:37]
	v_fma_f64 v[18:19], v[26:27], v[22:23], -v[28:29]
	v_accvgpr_write_b32 a115, v57
	v_accvgpr_write_b32 a114, v56
	v_mul_f64 v[56:57], v[18:19], v[36:37]
	v_mul_f64 v[18:19], v[100:101], v[30:31]
	v_fma_f64 v[18:19], v[102:103], v[26:27], -v[18:19]
	v_mul_f64 v[40:41], v[102:103], v[34:35]
	v_mul_f64 v[28:29], v[18:19], v[36:37]
	;; [unrolled: 1-line block ×3, first 2 shown]
	v_fma_f64 v[40:41], v[106:107], v[30:31], -v[40:41]
	v_mul_f64 v[42:43], v[106:107], v[20:21]
	v_fma_f64 v[18:19], v[100:101], v[20:21], -v[18:19]
	v_accvgpr_write_b32 a54, v60
	v_mul_f64 v[40:41], v[40:41], v[36:37]
	v_fma_f64 v[42:43], v[102:103], v[22:23], -v[42:43]
	v_accvgpr_write_b32 a55, v61
	v_mul_f64 v[60:61], v[18:19], v[36:37]
	v_accvgpr_write_b32 a32, v48
	v_accvgpr_write_b32 a84, v84
	;; [unrolled: 1-line block ×4, first 2 shown]
	v_mul_f64 v[42:43], v[42:43], v[36:37]
	v_fma_f64 v[18:19], v[2:3], v[30:31], -v[32:33]
	v_accvgpr_write_b32 a56, v62
	v_accvgpr_write_b32 a44, v52
	;; [unrolled: 1-line block ×3, first 2 shown]
	v_mul_f64 v[48:49], v[60:61], 0
	v_accvgpr_write_b32 a92, v104
	v_accvgpr_write_b32 a72, v88
	;; [unrolled: 1-line block ×4, first 2 shown]
	v_mul_f64 v[84:85], v[40:41], 0
	v_accvgpr_write_b32 a116, v90
	v_mul_f64 v[90:91], v[50:51], 0
	v_accvgpr_write_b32 a67, v75
	;; [unrolled: 2-line block ×3, first 2 shown]
	v_mul_f64 v[62:63], v[18:19], v[36:37]
	v_mul_f64 v[44:45], v[42:43], 0
	v_accvgpr_write_b32 a88, v96
	v_accvgpr_write_b32 a45, v53
	v_mul_f64 v[52:53], v[54:55], 0
	v_accvgpr_write_b32 a96, v108
	v_accvgpr_write_b32 a93, v105
	v_fma_f64 v[104:105], v[12:13], v[28:29], v[48:49]
	v_accvgpr_write_b32 a68, v78
	v_accvgpr_write_b32 a78, v92
	;; [unrolled: 1-line block ×3, first 2 shown]
	v_fma_f64 v[88:89], v[16:17], v[28:29], v[48:49]
	v_accvgpr_write_b32 a48, v58
	v_accvgpr_write_b32 a58, v72
	;; [unrolled: 1-line block ×3, first 2 shown]
	v_fma_f64 v[68:69], v[14:15], v[28:29], v[48:49]
	v_fmac_f64_e32 v[48:49], v[6:7], v[28:29]
	v_fma_f64 v[18:19], v[4:5], v[42:43], v[84:85]
	v_fma_f64 v[32:33], v[4:5], v[54:55], v[90:91]
	;; [unrolled: 1-line block ×6, first 2 shown]
	v_accvgpr_read_b32 v38, a138
	v_accvgpr_write_b32 a89, v97
	v_fma_f64 v[96:97], v[12:13], v[40:41], v[44:45]
	v_accvgpr_write_b32 a97, v109
	v_fma_f64 v[108:109], v[12:13], v[50:51], v[52:53]
	;; [unrolled: 2-line block ×6, first 2 shown]
	v_fmac_f64_e32 v[44:45], v[6:7], v[40:41]
	v_fmac_f64_e32 v[52:53], v[6:7], v[50:51]
	v_fma_f64 v[12:13], v[10:11], v[42:43], v[84:85]
	v_fma_f64 v[16:17], v[10:11], v[54:55], v[90:91]
	;; [unrolled: 1-line block ×6, first 2 shown]
	v_fmac_f64_e32 v[84:85], 0, v[42:43]
	v_accvgpr_read_b32 v39, a139
	v_fmac_f64_e32 v[90:91], 0, v[54:55]
	v_fmac_f64_e32 v[74:75], 0, v[60:61]
	v_fma_f64 v[238:239], v[38:39], v[46:47], v[84:85]
	v_fma_f64 v[230:231], v[38:39], v[56:57], v[90:91]
	;; [unrolled: 1-line block ×3, first 2 shown]
	v_accvgpr_read_b32 v38, a144
	v_accvgpr_read_b32 v39, a145
	v_fma_f64 v[122:123], v[38:39], v[46:47], v[84:85]
	v_fma_f64 v[236:237], v[38:39], v[56:57], v[90:91]
	;; [unrolled: 1-line block ×3, first 2 shown]
	v_accvgpr_read_b32 v38, a142
	v_accvgpr_write_b32 a155, v114          ;  Reload Reuse
	v_accvgpr_read_b32 v39, a143
	v_accvgpr_write_b32 a154, v115          ;  Reload Reuse
	v_fma_f64 v[114:115], v[38:39], v[46:47], v[84:85]
	v_fma_f64 v[120:121], v[38:39], v[56:57], v[90:91]
	;; [unrolled: 1-line block ×3, first 2 shown]
	v_accvgpr_read_b32 v38, a140
	v_add_f64 v[36:37], |v[0:1]|, s[6:7]
	v_accvgpr_read_b32 v39, a141
	v_fmac_f64_e32 v[84:85], v[38:39], v[46:47]
	v_fmac_f64_e32 v[90:91], v[38:39], v[56:57]
	;; [unrolled: 1-line block ×3, first 2 shown]
	v_div_scale_f64 v[38:39], s[20:21], v[36:37], v[36:37], 1.0
	v_rcp_f64_e32 v[40:41], v[38:39]
	v_fmac_f64_e32 v[96:97], 0, v[46:47]
	v_fmac_f64_e32 v[78:79], 0, v[46:47]
	;; [unrolled: 1-line block ×3, first 2 shown]
	v_fma_f64 v[42:43], -v[38:39], v[40:41], 1.0
	v_fmac_f64_e32 v[40:41], v[40:41], v[42:43]
	v_fma_f64 v[42:43], -v[38:39], v[40:41], 1.0
	v_fmac_f64_e32 v[40:41], v[40:41], v[42:43]
	v_div_scale_f64 v[42:43], vcc, 1.0, v[36:37], 1.0
	v_fmac_f64_e32 v[44:45], 0, v[46:47]
	v_fmac_f64_e32 v[18:19], 0, v[46:47]
	;; [unrolled: 1-line block ×5, first 2 shown]
	v_mul_f64 v[46:47], v[42:43], v[40:41]
	v_fma_f64 v[38:39], -v[38:39], v[46:47], v[42:43]
	v_div_fmas_f64 v[38:39], v[38:39], v[40:41], v[46:47]
	v_div_fixup_f64 v[36:37], v[38:39], v[36:37], 1.0
	v_accvgpr_write_b32 a124, v128
	v_accvgpr_write_b32 a125, v129
	v_mul_f64 v[128:129], v[2:3], v[36:37]
	v_accvgpr_write_b32 a112, v124
	v_mul_f64 v[38:39], v[26:27], v[36:37]
	v_accvgpr_write_b32 a126, v130
	v_accvgpr_write_b32 a113, v125
	v_mul_f64 v[124:125], v[20:21], v[36:37]
	v_accvgpr_write_b32 a118, v126
	v_accvgpr_write_b32 a108, v118
	;; [unrolled: 1-line block ×3, first 2 shown]
	v_mul_f64 v[20:21], v[128:129], 0
	v_accvgpr_write_b32 a127, v131
	v_mul_f64 v[130:131], v[100:101], v[36:37]
	v_mul_f64 v[40:41], v[30:31], v[36:37]
	v_accvgpr_write_b32 a119, v127
	v_mul_f64 v[126:127], v[102:103], v[36:37]
	v_accvgpr_write_b32 a109, v119
	v_mul_f64 v[118:119], v[22:23], v[36:37]
	v_mul_f64 v[34:35], v[34:35], v[36:37]
	v_accvgpr_write_b32 a105, v113
	v_mul_f64 v[112:113], v[106:107], v[36:37]
	v_mul_f64 v[36:37], v[124:125], 0
	v_fma_f64 v[22:23], v[38:39], -s[14:15], v[20:21]
	v_accvgpr_write_b32 a121, v95
	v_accvgpr_write_b32 a80, v82
	v_fma_f64 v[2:3], v[40:41], -v[98:99], v[36:37]
	v_accvgpr_write_b32 a120, v94
	v_fma_f64 v[94:95], -v[130:131], v[24:25], v[22:23]
	v_fma_f64 v[22:23], v[40:41], -s[14:15], v[36:37]
	v_accvgpr_write_b32 a81, v83
	v_fma_f64 v[82:83], v[98:99], v[40:41], v[36:37]
	v_fmac_f64_e32 v[36:37], s[14:15], v[40:41]
	v_accvgpr_write_b32 a64, v70
	v_accvgpr_write_b32 a130, v134
	;; [unrolled: 1-line block ×4, first 2 shown]
	v_fma_f64 v[70:71], -v[126:127], s[18:19], v[36:37]
	v_mul_f64 v[36:37], v[38:39], 0
	v_mul_f64 v[26:27], v[38:39], -v[98:99]
	v_fma_f64 v[232:233], v[38:39], -v[98:99], v[20:21]
	v_mul_f64 v[42:43], v[118:119], 0
	v_mul_f64 v[250:251], v[38:39], -s[14:15]
	v_accvgpr_write_b32 a131, v135
	v_mul_f64 v[134:135], v[98:99], v[38:39]
	v_accvgpr_write_b32 a75, v77
	v_fma_f64 v[76:77], v[98:99], v[38:39], v[20:21]
	v_mul_f64 v[254:255], s[14:15], v[38:39]
	v_fmac_f64_e32 v[20:21], s[14:15], v[38:39]
	v_fma_f64 v[38:39], v[142:143], v[128:129], v[36:37]
	v_fmac_f64_e32 v[108:109], 0, v[56:57]
	v_fmac_f64_e32 v[92:93], 0, v[56:57]
	v_fmac_f64_e32 v[72:73], 0, v[56:57]
	v_fmac_f64_e32 v[52:53], 0, v[56:57]
	v_fmac_f64_e32 v[32:33], 0, v[56:57]
	v_fmac_f64_e32 v[16:17], 0, v[56:57]
	v_fmac_f64_e32 v[10:11], 0, v[56:57]
	v_fmac_f64_e32 v[4:5], 0, v[56:57]
	v_accvgpr_write_b32 a128, v132
	v_fma_f64 v[106:107], -v[126:127], v[24:25], v[22:23]
	v_fma_f64 v[22:23], v[34:35], -s[14:15], v[42:43]
	v_accvgpr_write_b32 a132, v136
	v_accvgpr_write_b32 a134, v138
	;; [unrolled: 1-line block ×4, first 2 shown]
	v_fma_f64 v[56:57], v[130:131], -v[24:25], v[38:39]
	v_mul_f64 v[38:39], v[40:41], 0
	v_mul_f64 v[30:31], v[40:41], -v[98:99]
	v_accvgpr_write_b32 a129, v133
	v_mul_f64 v[132:133], v[34:35], -v[98:99]
	v_fma_f64 v[242:243], v[34:35], -v[98:99], v[42:43]
	v_mul_f64 v[252:253], v[40:41], -s[14:15]
	v_mul_f64 v[248:249], v[34:35], -s[14:15]
	v_fma_f64 v[100:101], -v[112:113], v[24:25], v[22:23]
	v_accvgpr_write_b32 a133, v137
	v_mul_f64 v[136:137], v[98:99], v[40:41]
	v_accvgpr_write_b32 a135, v139
	v_mul_f64 v[138:139], v[98:99], v[34:35]
	v_accvgpr_write_b32 a77, v81
	v_fma_f64 v[80:81], v[98:99], v[34:35], v[42:43]
	v_accvgpr_write_b32 a61, v65
	v_fma_f64 v[64:65], -v[130:131], s[18:19], v[20:21]
	v_mul_f64 v[22:23], s[14:15], v[40:41]
	v_mul_f64 v[20:21], s[14:15], v[34:35]
	v_fmac_f64_e32 v[42:43], s[14:15], v[34:35]
	v_fma_f64 v[40:41], v[142:143], v[124:125], v[38:39]
	v_mul_f64 v[34:35], v[34:35], 0
	v_fmac_f64_e32 v[104:105], 0, v[62:63]
	v_fmac_f64_e32 v[88:89], 0, v[62:63]
	;; [unrolled: 1-line block ×8, first 2 shown]
	v_fma_f64 v[62:63], v[126:127], -v[24:25], v[40:41]
	v_fma_f64 v[40:41], v[142:143], v[118:119], v[34:35]
	v_fma_f64 v[46:47], s[10:11], v[128:129], v[36:37]
	;; [unrolled: 1-line block ×4, first 2 shown]
	v_fmac_f64_e32 v[232:233], v[24:25], v[130:131]
	v_fmac_f64_e32 v[2:3], v[24:25], v[126:127]
	;; [unrolled: 1-line block ×3, first 2 shown]
	v_fma_f64 v[60:61], v[112:113], -v[24:25], v[40:41]
	v_fmac_f64_e32 v[46:47], v[24:25], v[130:131]
	v_fmac_f64_e32 v[54:55], v[24:25], v[126:127]
	v_fmac_f64_e32 v[50:51], v[24:25], v[112:113]
	v_fma_f64 v[24:25], -v[128:129], v[142:143], v[36:37]
	v_accvgpr_write_b32 a62, v66
	v_fma_f64 v[110:111], v[130:131], -s[18:19], v[24:25]
	v_fma_f64 v[24:25], -v[124:125], v[142:143], v[38:39]
	v_accvgpr_write_b32 a63, v67
	v_fma_f64 v[66:67], -v[112:113], s[18:19], v[42:43]
	v_fma_f64 v[42:43], v[126:127], -s[18:19], v[24:25]
	v_fma_f64 v[24:25], -v[118:119], v[142:143], v[34:35]
	v_accvgpr_write_b32 a101, v87
	v_fma_f64 v[40:41], v[112:113], -s[18:19], v[24:25]
	v_accvgpr_write_b32 a100, v86
	v_fma_f64 v[86:87], -v[128:129], s[10:11], v[36:37]
	v_fma_f64 v[98:99], -v[118:119], s[10:11], v[34:35]
	v_fma_f64 v[36:37], v[118:119], -v[142:143], v[138:139]
	v_fma_f64 v[24:25], v[128:129], -s[10:11], v[26:27]
	;; [unrolled: 1-line block ×3, first 2 shown]
	v_fmac_f64_e32 v[20:21], v[142:143], v[118:119]
	v_fmac_f64_e32 v[248:249], s[10:11], v[118:119]
	;; [unrolled: 1-line block ×8, first 2 shown]
	v_mul_f64 v[112:113], v[108:109], v[108:109]
	v_fmac_f64_e32 v[112:113], v[96:97], v[96:97]
	v_ldexp_f64 v[0:1], |v[0:1]|, -3
	v_fmac_f64_e32 v[112:113], v[104:105], v[104:105]
	v_fmac_f64_e32 v[228:229], v[0:1], v[112:113]
	v_mul_f64 v[112:113], v[108:109], v[92:93]
	v_fmac_f64_e32 v[112:113], v[96:97], v[78:79]
	v_fmac_f64_e32 v[112:113], v[104:105], v[88:89]
	v_fmac_f64_e32 v[226:227], v[0:1], v[112:113]
	v_mul_f64 v[112:113], v[108:109], v[72:73]
	v_fmac_f64_e32 v[112:113], v[96:97], v[58:59]
	;; [unrolled: 4-line block ×9, first 2 shown]
	v_fmac_f64_e32 v[112:113], v[104:105], v[234:235]
	v_fmac_f64_e32 v[166:167], v[0:1], v[112:113]
	v_mul_f64 v[112:113], v[108:109], v[120:121]
	v_mul_f64 v[108:109], v[108:109], v[90:91]
	v_fmac_f64_e32 v[112:113], v[96:97], v[114:115]
	v_fmac_f64_e32 v[108:109], v[96:97], v[84:85]
	v_accvgpr_read_b32 v96, a155            ;  Reload Reuse
	v_fmac_f64_e32 v[108:109], v[104:105], v[74:75]
	v_accvgpr_read_b32 v97, a154            ;  Reload Reuse
	v_fmac_f64_e32 v[96:97], v[0:1], v[108:109]
	v_accvgpr_write_b32 a155, v96           ;  Reload Reuse
	v_accvgpr_write_b32 a154, v97           ;  Reload Reuse
	v_mul_f64 v[96:97], v[92:93], v[92:93]
	v_fmac_f64_e32 v[96:97], v[78:79], v[78:79]
	v_fmac_f64_e32 v[96:97], v[88:89], v[88:89]
	v_fmac_f64_e32 v[224:225], v[0:1], v[96:97]
	v_mul_f64 v[96:97], v[92:93], v[72:73]
	v_fmac_f64_e32 v[96:97], v[78:79], v[58:59]
	v_fmac_f64_e32 v[96:97], v[88:89], v[68:69]
	v_fmac_f64_e32 v[220:221], v[0:1], v[96:97]
	;; [unrolled: 4-line block ×9, first 2 shown]
	v_mul_f64 v[96:97], v[92:93], v[120:121]
	v_mul_f64 v[92:93], v[92:93], v[90:91]
	v_fmac_f64_e32 v[96:97], v[78:79], v[114:115]
	v_fmac_f64_e32 v[92:93], v[78:79], v[84:85]
	v_mul_f64 v[78:79], v[72:73], v[72:73]
	v_fmac_f64_e32 v[78:79], v[58:59], v[58:59]
	v_fmac_f64_e32 v[78:79], v[68:69], v[68:69]
	v_fmac_f64_e32 v[216:217], v[0:1], v[78:79]
	v_mul_f64 v[78:79], v[72:73], v[52:53]
	v_fmac_f64_e32 v[78:79], v[58:59], v[44:45]
	;; [unrolled: 4-line block ×8, first 2 shown]
	v_fmac_f64_e32 v[78:79], v[68:69], v[234:235]
	v_fmac_f64_e32 v[146:147], v[0:1], v[78:79]
	v_mul_f64 v[78:79], v[72:73], v[120:121]
	v_mul_f64 v[72:73], v[72:73], v[90:91]
	v_fmac_f64_e32 v[78:79], v[58:59], v[114:115]
	v_fmac_f64_e32 v[72:73], v[58:59], v[84:85]
	v_mul_f64 v[58:59], v[52:53], v[52:53]
	v_fmac_f64_e32 v[58:59], v[44:45], v[44:45]
	v_fmac_f64_e32 v[58:59], v[48:49], v[48:49]
	v_fmac_f64_e32 v[204:205], v[0:1], v[58:59]
	v_mul_f64 v[58:59], v[52:53], v[32:33]
	v_fmac_f64_e32 v[58:59], v[44:45], v[18:19]
	;; [unrolled: 4-line block ×6, first 2 shown]
	v_fmac_f64_e32 v[78:79], v[68:69], v[116:117]
	v_fmac_f64_e32 v[72:73], v[68:69], v[74:75]
	v_accvgpr_read_b32 v69, a53
	v_fmac_f64_e32 v[58:59], v[48:49], v[240:241]
	v_accvgpr_read_b32 v68, a52
	v_fmac_f64_e32 v[150:151], v[0:1], v[58:59]
	v_mul_f64 v[58:59], v[52:53], v[236:237]
	v_accvgpr_write_b32 a52, v140
	v_fmac_f64_e32 v[58:59], v[44:45], v[122:123]
	v_accvgpr_write_b32 a53, v141
	v_accvgpr_read_b32 v140, a157           ;  Reload Reuse
	v_fmac_f64_e32 v[58:59], v[48:49], v[234:235]
	v_accvgpr_read_b32 v141, a156           ;  Reload Reuse
	v_fmac_f64_e32 v[140:141], v[0:1], v[58:59]
	v_mul_f64 v[58:59], v[52:53], v[120:121]
	v_mul_f64 v[52:53], v[52:53], v[90:91]
	v_fmac_f64_e32 v[58:59], v[44:45], v[114:115]
	v_fmac_f64_e32 v[52:53], v[44:45], v[84:85]
	v_mul_f64 v[44:45], v[32:33], v[32:33]
	v_fmac_f64_e32 v[44:45], v[18:19], v[18:19]
	v_fmac_f64_e32 v[44:45], v[28:29], v[28:29]
	v_fmac_f64_e32 v[190:191], v[0:1], v[44:45]
	v_mul_f64 v[44:45], v[32:33], v[16:17]
	v_fmac_f64_e32 v[44:45], v[18:19], v[12:13]
	;; [unrolled: 4-line block ×4, first 2 shown]
	v_fmac_f64_e32 v[44:45], v[18:19], v[244:245]
	v_fmac_f64_e32 v[144:145], v[0:1], v[96:97]
	;; [unrolled: 1-line block ×4, first 2 shown]
	v_accvgpr_read_b32 v49, a33
	v_fmac_f64_e32 v[44:45], v[28:29], v[246:247]
	v_accvgpr_read_b32 v48, a32
	v_fmac_f64_e32 v[156:157], v[0:1], v[44:45]
	v_mul_f64 v[44:45], v[32:33], v[230:231]
	v_accvgpr_write_b32 a32, v144
	v_fmac_f64_e32 v[44:45], v[18:19], v[238:239]
	v_accvgpr_write_b32 a33, v145
	v_accvgpr_read_b32 v144, a153           ;  Reload Reuse
	v_fmac_f64_e32 v[44:45], v[28:29], v[240:241]
	v_accvgpr_read_b32 v145, a152           ;  Reload Reuse
	v_fma_f64 v[34:35], v[128:129], -v[142:143], v[134:135]
	v_fmac_f64_e32 v[254:255], v[142:143], v[128:129]
	v_fmac_f64_e32 v[250:251], s[10:11], v[128:129]
	;; [unrolled: 1-line block ×3, first 2 shown]
	v_mul_f64 v[44:45], v[32:33], v[236:237]
	v_fmac_f64_e32 v[76:77], s[18:19], v[130:131]
	v_fmac_f64_e32 v[86:87], s[18:19], v[130:131]
	;; [unrolled: 1-line block ×6, first 2 shown]
	v_accvgpr_read_b32 v131, a127
	v_fmac_f64_e32 v[44:45], v[18:19], v[122:123]
	v_accvgpr_read_b32 v130, a126
	v_fmac_f64_e32 v[44:45], v[28:29], v[234:235]
	v_fmac_f64_e32 v[130:131], v[0:1], v[44:45]
	v_mul_f64 v[44:45], v[32:33], v[120:121]
	v_mul_f64 v[32:33], v[32:33], v[90:91]
	v_fmac_f64_e32 v[44:45], v[18:19], v[114:115]
	v_fmac_f64_e32 v[32:33], v[18:19], v[84:85]
	v_mul_f64 v[18:19], v[16:17], v[16:17]
	v_fmac_f64_e32 v[18:19], v[12:13], v[12:13]
	v_fmac_f64_e32 v[18:19], v[14:15], v[14:15]
	v_fmac_f64_e32 v[174:175], v[0:1], v[18:19]
	v_mul_f64 v[18:19], v[16:17], v[10:11]
	v_fmac_f64_e32 v[18:19], v[12:13], v[6:7]
	;; [unrolled: 4-line block ×3, first 2 shown]
	v_fmac_f64_e32 v[18:19], v[14:15], v[246:247]
	v_fmac_f64_e32 v[148:149], v[0:1], v[18:19]
	v_mul_f64 v[18:19], v[16:17], v[230:231]
	v_fma_f64 v[102:103], -v[124:125], s[10:11], v[38:39]
	v_fma_f64 v[38:39], v[124:125], -v[142:143], v[136:137]
	v_accvgpr_read_b32 v137, a133
	v_fmac_f64_e32 v[18:19], v[12:13], v[238:239]
	v_accvgpr_read_b32 v136, a132
	v_fmac_f64_e32 v[18:19], v[14:15], v[240:241]
	v_fmac_f64_e32 v[136:137], v[0:1], v[18:19]
	v_mul_f64 v[18:19], v[16:17], v[236:237]
	v_accvgpr_read_b32 v119, a109
	v_fmac_f64_e32 v[18:19], v[12:13], v[122:123]
	v_accvgpr_read_b32 v118, a108
	v_fmac_f64_e32 v[18:19], v[14:15], v[234:235]
	v_fmac_f64_e32 v[118:119], v[0:1], v[18:19]
	v_mul_f64 v[18:19], v[16:17], v[120:121]
	v_mul_f64 v[16:17], v[16:17], v[90:91]
	v_fmac_f64_e32 v[18:19], v[12:13], v[114:115]
	v_fmac_f64_e32 v[16:17], v[12:13], v[84:85]
	v_mul_f64 v[12:13], v[10:11], v[10:11]
	v_fmac_f64_e32 v[12:13], v[6:7], v[6:7]
	v_fmac_f64_e32 v[12:13], v[8:9], v[8:9]
	v_accvgpr_write_b32 a157, v140          ;  Reload Reuse
	v_fmac_f64_e32 v[152:153], v[0:1], v[12:13]
	v_mul_f64 v[12:13], v[10:11], v[4:5]
	v_accvgpr_write_b32 a156, v141          ;  Reload Reuse
	v_accvgpr_read_b32 v141, a53
	v_fmac_f64_e32 v[12:13], v[6:7], v[244:245]
	v_accvgpr_read_b32 v140, a52
	v_fmac_f64_e32 v[12:13], v[8:9], v[246:247]
	v_fmac_f64_e32 v[140:141], v[0:1], v[12:13]
	v_mul_f64 v[12:13], v[10:11], v[230:231]
	v_accvgpr_read_b32 v129, a125
	v_fmac_f64_e32 v[12:13], v[6:7], v[238:239]
	v_accvgpr_read_b32 v128, a124
	v_fmac_f64_e32 v[12:13], v[8:9], v[240:241]
	v_fmac_f64_e32 v[128:129], v[0:1], v[12:13]
	v_mul_f64 v[12:13], v[10:11], v[236:237]
	;; [unrolled: 6-line block ×3, first 2 shown]
	v_mul_f64 v[10:11], v[10:11], v[90:91]
	v_fmac_f64_e32 v[12:13], v[6:7], v[114:115]
	v_fmac_f64_e32 v[10:11], v[6:7], v[84:85]
	v_mul_f64 v[6:7], v[4:5], v[4:5]
	v_accvgpr_read_b32 v139, a135
	v_fmac_f64_e32 v[6:7], v[244:245], v[244:245]
	v_accvgpr_read_b32 v138, a134
	v_fmac_f64_e32 v[6:7], v[246:247], v[246:247]
	v_fmac_f64_e32 v[138:139], v[0:1], v[6:7]
	v_mul_f64 v[6:7], v[4:5], v[230:231]
	v_fma_f64 v[30:31], v[124:125], -s[10:11], v[30:31]
	v_fmac_f64_e32 v[22:23], v[142:143], v[124:125]
	v_fmac_f64_e32 v[252:253], s[10:11], v[124:125]
	v_accvgpr_read_b32 v125, a113
	v_fmac_f64_e32 v[6:7], v[244:245], v[238:239]
	v_accvgpr_read_b32 v124, a112
	v_fmac_f64_e32 v[6:7], v[246:247], v[240:241]
	v_fmac_f64_e32 v[124:125], v[0:1], v[6:7]
	v_mul_f64 v[6:7], v[4:5], v[236:237]
	v_fmac_f64_e32 v[92:93], v[88:89], v[74:75]
	v_accvgpr_read_b32 v89, a73
	v_fmac_f64_e32 v[6:7], v[244:245], v[122:123]
	v_accvgpr_read_b32 v88, a72
	v_fmac_f64_e32 v[6:7], v[246:247], v[234:235]
	v_fmac_f64_e32 v[88:89], v[0:1], v[6:7]
	v_mul_f64 v[6:7], v[4:5], v[120:121]
	v_mul_f64 v[4:5], v[4:5], v[90:91]
	v_fmac_f64_e32 v[18:19], v[14:15], v[116:117]
	v_fmac_f64_e32 v[16:17], v[14:15], v[74:75]
	v_accvgpr_read_b32 v15, a11
	v_fmac_f64_e32 v[4:5], v[244:245], v[84:85]
	v_accvgpr_read_b32 v14, a10
	v_fmac_f64_e32 v[4:5], v[246:247], v[74:75]
	v_fmac_f64_e32 v[14:15], v[0:1], v[4:5]
	v_mul_f64 v[4:5], v[230:231], v[230:231]
	v_fmac_f64_e32 v[112:113], v[104:105], v[116:117]
	v_accvgpr_read_b32 v109, a97
	v_fmac_f64_e32 v[4:5], v[238:239], v[238:239]
	v_fmac_f64_e32 v[154:155], v[0:1], v[112:113]
	v_accvgpr_read_b32 v113, a105
	v_accvgpr_read_b32 v108, a96
	v_fmac_f64_e32 v[4:5], v[240:241], v[240:241]
	v_accvgpr_read_b32 v112, a104
	v_fmac_f64_e32 v[108:109], v[0:1], v[4:5]
	v_mul_f64 v[4:5], v[230:231], v[236:237]
	v_fmac_f64_e32 v[112:113], v[0:1], v[72:73]
	v_accvgpr_read_b32 v73, a59
	v_fmac_f64_e32 v[4:5], v[238:239], v[122:123]
	v_accvgpr_read_b32 v72, a58
	v_fmac_f64_e32 v[4:5], v[240:241], v[234:235]
	v_fmac_f64_e32 v[82:83], s[18:19], v[126:127]
	v_fmac_f64_e32 v[102:103], s[18:19], v[126:127]
	v_fmac_f64_e32 v[38:39], 0, v[126:127]
	v_fmac_f64_e32 v[30:31], 0, v[126:127]
	v_fmac_f64_e32 v[22:23], 0, v[126:127]
	v_fmac_f64_e32 v[252:253], 0, v[126:127]
	v_accvgpr_read_b32 v127, a119
	v_fmac_f64_e32 v[32:33], v[28:29], v[74:75]
	v_fmac_f64_e32 v[72:73], v[0:1], v[4:5]
	v_mul_f64 v[4:5], v[230:231], v[120:121]
	v_accvgpr_read_b32 v126, a118
	v_fmac_f64_e32 v[68:69], v[0:1], v[32:33]
	v_accvgpr_read_b32 v33, a19
	v_fmac_f64_e32 v[4:5], v[238:239], v[114:115]
	v_fmac_f64_e32 v[126:127], v[0:1], v[58:59]
	v_accvgpr_read_b32 v59, a49
	v_accvgpr_read_b32 v32, a18
	v_fmac_f64_e32 v[4:5], v[240:241], v[116:117]
	v_accvgpr_read_b32 v133, a129
	v_accvgpr_read_b32 v58, a48
	v_fmac_f64_e32 v[12:13], v[8:9], v[116:117]
	v_fmac_f64_e32 v[32:33], v[0:1], v[4:5]
	v_mul_f64 v[4:5], v[230:231], v[90:91]
	v_accvgpr_read_b32 v132, a128
	v_fmac_f64_e32 v[58:59], v[0:1], v[12:13]
	v_accvgpr_read_b32 v13, a9
	v_fmac_f64_e32 v[4:5], v[238:239], v[84:85]
	v_fmac_f64_e32 v[132:133], v[0:1], v[92:93]
	v_accvgpr_read_b32 v93, a79
	v_accvgpr_read_b32 v12, a8
	v_fmac_f64_e32 v[4:5], v[240:241], v[74:75]
	v_accvgpr_read_b32 v135, a131
	v_accvgpr_read_b32 v92, a78
	v_fmac_f64_e32 v[12:13], v[0:1], v[4:5]
	v_mul_f64 v[4:5], v[236:237], v[236:237]
	v_accvgpr_read_b32 v134, a130
	v_fmac_f64_e32 v[92:93], v[0:1], v[52:53]
	v_accvgpr_read_b32 v53, a45
	v_fmac_f64_e32 v[4:5], v[122:123], v[122:123]
	v_fmac_f64_e32 v[134:135], v[0:1], v[78:79]
	v_accvgpr_read_b32 v79, a69
	v_accvgpr_read_b32 v52, a44
	v_fmac_f64_e32 v[4:5], v[234:235], v[234:235]
	v_accvgpr_read_b32 v78, a68
	v_fmac_f64_e32 v[52:53], v[0:1], v[4:5]
	v_mul_f64 v[4:5], v[236:237], v[120:121]
	v_fmac_f64_e32 v[78:79], v[0:1], v[18:19]
	v_accvgpr_read_b32 v19, a15
	v_fmac_f64_e32 v[4:5], v[122:123], v[114:115]
	v_fmac_f64_e32 v[44:45], v[28:29], v[116:117]
	v_accvgpr_read_b32 v29, a17
	v_accvgpr_read_b32 v18, a14
	v_fmac_f64_e32 v[4:5], v[234:235], v[116:117]
	v_accvgpr_read_b32 v105, a93
	v_accvgpr_read_b32 v28, a16
	v_fmac_f64_e32 v[10:11], v[8:9], v[74:75]
	v_fmac_f64_e32 v[18:19], v[0:1], v[4:5]
	v_mul_f64 v[4:5], v[236:237], v[90:91]
	v_accvgpr_read_b32 v104, a92
	v_fmac_f64_e32 v[28:29], v[0:1], v[10:11]
	v_accvgpr_read_b32 v11, a7
	v_fmac_f64_e32 v[4:5], v[122:123], v[84:85]
	v_fmac_f64_e32 v[104:105], v[0:1], v[44:45]
	v_accvgpr_read_b32 v45, a29
	v_accvgpr_read_b32 v10, a6
	v_fmac_f64_e32 v[4:5], v[234:235], v[74:75]
	v_accvgpr_read_b32 v44, a28
	v_fmac_f64_e32 v[10:11], v[0:1], v[4:5]
	v_mul_f64 v[4:5], v[120:121], v[120:121]
	v_fmac_f64_e32 v[44:45], v[0:1], v[16:17]
	v_accvgpr_read_b32 v17, a13
	v_fmac_f64_e32 v[4:5], v[114:115], v[114:115]
	v_accvgpr_read_b32 v16, a12
	v_fmac_f64_e32 v[4:5], v[116:117], v[116:117]
	v_fmac_f64_e32 v[16:17], v[0:1], v[4:5]
	v_mul_f64 v[4:5], v[120:121], v[90:91]
	v_accvgpr_read_b32 v9, a5
	v_fmac_f64_e32 v[4:5], v[114:115], v[84:85]
	v_accvgpr_read_b32 v8, a4
	v_fmac_f64_e32 v[6:7], v[244:245], v[114:115]
	v_fmac_f64_e32 v[4:5], v[116:117], v[74:75]
	;; [unrolled: 1-line block ×4, first 2 shown]
	v_mul_f64 v[4:5], v[90:91], v[90:91]
	v_fmac_f64_e32 v[48:49], v[0:1], v[6:7]
	v_accvgpr_read_b32 v7, a3
	v_fmac_f64_e32 v[4:5], v[84:85], v[84:85]
	v_accvgpr_read_b32 v6, a2
	v_fmac_f64_e32 v[4:5], v[74:75], v[74:75]
	v_fmac_f64_e32 v[6:7], v[0:1], v[4:5]
	v_mul_f64 v[4:5], v[2:3], v[2:3]
	v_fmac_f64_e32 v[4:5], v[232:233], v[232:233]
	v_fmac_f64_e32 v[4:5], v[242:243], v[242:243]
	v_fmac_f64_e32 v[228:229], v[0:1], v[4:5]
	v_mul_f64 v[4:5], v[2:3], v[106:107]
	v_fmac_f64_e32 v[4:5], v[232:233], v[94:95]
	;; [unrolled: 4-line block ×10, first 2 shown]
	v_fmac_f64_e32 v[4:5], v[242:243], v[26:27]
	v_fmac_f64_e32 v[166:167], v[0:1], v[4:5]
	v_mul_f64 v[4:5], v[2:3], v[22:23]
	v_mul_f64 v[2:3], v[2:3], v[252:253]
	v_accvgpr_read_b32 v114, a155           ;  Reload Reuse
	v_fmac_f64_e32 v[2:3], v[232:233], v[250:251]
	v_accvgpr_read_b32 v115, a154           ;  Reload Reuse
	v_fmac_f64_e32 v[2:3], v[242:243], v[248:249]
	v_fmac_f64_e32 v[114:115], v[0:1], v[2:3]
	v_mul_f64 v[2:3], v[106:107], v[106:107]
	v_fmac_f64_e32 v[2:3], v[94:95], v[94:95]
	v_fmac_f64_e32 v[2:3], v[100:101], v[100:101]
	v_fmac_f64_e32 v[224:225], v[0:1], v[2:3]
	v_mul_f64 v[2:3], v[106:107], v[82:83]
	v_fmac_f64_e32 v[2:3], v[94:95], v[76:77]
	v_fmac_f64_e32 v[2:3], v[100:101], v[80:81]
	v_fmac_f64_e32 v[220:221], v[0:1], v[2:3]
	v_mul_f64 v[2:3], v[106:107], v[70:71]
	v_fmac_f64_e32 v[2:3], v[94:95], v[64:65]
	v_fmac_f64_e32 v[2:3], v[100:101], v[66:67]
	v_fmac_f64_e32 v[214:215], v[0:1], v[2:3]
	v_mul_f64 v[2:3], v[106:107], v[62:63]
	v_fmac_f64_e32 v[2:3], v[94:95], v[56:57]
	v_fmac_f64_e32 v[2:3], v[100:101], v[60:61]
	v_fmac_f64_e32 v[208:209], v[0:1], v[2:3]
	v_mul_f64 v[2:3], v[106:107], v[54:55]
	v_fmac_f64_e32 v[2:3], v[94:95], v[46:47]
	v_fmac_f64_e32 v[2:3], v[100:101], v[50:51]
	v_fmac_f64_e32 v[200:201], v[0:1], v[2:3]
	v_mul_f64 v[2:3], v[106:107], v[42:43]
	v_fmac_f64_e32 v[2:3], v[94:95], v[110:111]
	v_fmac_f64_e32 v[2:3], v[100:101], v[40:41]
	v_fmac_f64_e32 v[192:193], v[0:1], v[2:3]
	v_mul_f64 v[2:3], v[106:107], v[102:103]
	v_fmac_f64_e32 v[2:3], v[94:95], v[86:87]
	v_fmac_f64_e32 v[2:3], v[100:101], v[98:99]
	v_fmac_f64_e32 v[182:183], v[0:1], v[2:3]
	v_mul_f64 v[2:3], v[106:107], v[38:39]
	v_fmac_f64_e32 v[2:3], v[94:95], v[34:35]
	v_fmac_f64_e32 v[2:3], v[100:101], v[36:37]
	v_fmac_f64_e32 v[170:171], v[0:1], v[2:3]
	v_mul_f64 v[2:3], v[106:107], v[30:31]
	v_fmac_f64_e32 v[2:3], v[94:95], v[24:25]
	v_fmac_f64_e32 v[2:3], v[100:101], v[26:27]
	v_accvgpr_write_b32 a153, v144          ;  Reload Reuse
	v_fmac_f64_e32 v[158:159], v[0:1], v[2:3]
	v_mul_f64 v[2:3], v[106:107], v[22:23]
	v_accvgpr_write_b32 a152, v145          ;  Reload Reuse
	v_accvgpr_read_b32 v145, a33
	v_fmac_f64_e32 v[2:3], v[94:95], v[254:255]
	v_accvgpr_read_b32 v144, a32
	v_fmac_f64_e32 v[2:3], v[100:101], v[20:21]
	v_fmac_f64_e32 v[144:145], v[0:1], v[2:3]
	v_mul_f64 v[2:3], v[106:107], v[252:253]
	v_fmac_f64_e32 v[2:3], v[94:95], v[250:251]
	v_fmac_f64_e32 v[2:3], v[100:101], v[248:249]
	v_fmac_f64_e32 v[132:133], v[0:1], v[2:3]
	v_mul_f64 v[2:3], v[82:83], v[82:83]
	v_fmac_f64_e32 v[2:3], v[76:77], v[76:77]
	;; [unrolled: 4-line block ×17, first 2 shown]
	v_fmac_f64_e32 v[4:5], v[232:233], v[254:255]
	v_fmac_f64_e32 v[2:3], v[66:67], v[36:37]
	;; [unrolled: 1-line block ×4, first 2 shown]
	v_mul_f64 v[2:3], v[70:71], v[30:31]
	v_fmac_f64_e32 v[154:155], v[0:1], v[4:5]
	v_accvgpr_read_b32 v4, a157             ;  Reload Reuse
	v_fmac_f64_e32 v[2:3], v[64:65], v[24:25]
	v_accvgpr_read_b32 v5, a156             ;  Reload Reuse
	v_fmac_f64_e32 v[2:3], v[66:67], v[26:27]
	v_fmac_f64_e32 v[4:5], v[0:1], v[2:3]
	v_mul_f64 v[2:3], v[70:71], v[22:23]
	v_fmac_f64_e32 v[2:3], v[64:65], v[254:255]
	v_fmac_f64_e32 v[2:3], v[66:67], v[20:21]
	v_fmac_f64_e32 v[126:127], v[0:1], v[2:3]
	v_mul_f64 v[2:3], v[70:71], v[252:253]
	v_fmac_f64_e32 v[2:3], v[64:65], v[250:251]
	;; [unrolled: 4-line block ×6, first 2 shown]
	v_fmac_f64_e32 v[2:3], v[60:61], v[98:99]
	v_fmac_f64_e32 v[156:157], v[0:1], v[2:3]
	v_mul_f64 v[2:3], v[62:63], v[38:39]
	v_accvgpr_read_b32 v100, a153           ;  Reload Reuse
	v_fmac_f64_e32 v[2:3], v[56:57], v[34:35]
	v_accvgpr_read_b32 v101, a152           ;  Reload Reuse
	v_fmac_f64_e32 v[2:3], v[60:61], v[36:37]
	v_fmac_f64_e32 v[100:101], v[0:1], v[2:3]
	v_mul_f64 v[2:3], v[62:63], v[30:31]
	v_fmac_f64_e32 v[2:3], v[56:57], v[24:25]
	v_fmac_f64_e32 v[2:3], v[60:61], v[26:27]
	v_fmac_f64_e32 v[130:131], v[0:1], v[2:3]
	v_mul_f64 v[2:3], v[62:63], v[22:23]
	v_fmac_f64_e32 v[2:3], v[56:57], v[254:255]
	;; [unrolled: 4-line block ×31, first 2 shown]
	v_accvgpr_read_b32 v90, a116
	v_accvgpr_read_b32 v84, a84
	;; [unrolled: 1-line block ×24, first 2 shown]
	v_fmac_f64_e32 v[2:3], v[248:249], v[248:249]
	v_accvgpr_read_b32 v91, a117
	v_accvgpr_read_b32 v85, a85
	;; [unrolled: 1-line block ×24, first 2 shown]
	v_fmac_f64_e32 v[6:7], v[0:1], v[2:3]
	s_mov_b64 s[20:21], 0
	s_and_b64 vcc, exec, s[0:1]
	s_mov_b64 s[18:19], s[8:9]
	s_cbranch_vccz .LBB1_4
; %bb.5:                                ;   in Loop: Header=BB1_3 Depth=2
	s_mov_b64 s[0:1], 0
	s_and_b64 vcc, exec, s[16:17]
	s_cbranch_vccnz .LBB1_7
; %bb.6:                                ;   in Loop: Header=BB1_3 Depth=2
	s_mov_b64 s[14:15], s[8:9]
	s_branch .LBB1_3
.LBB1_7:                                ;   in Loop: Header=BB1_2 Depth=1
	s_and_b64 vcc, exec, s[12:13]
	s_cbranch_vccnz .LBB1_9
; %bb.8:                                ;   in Loop: Header=BB1_2 Depth=1
	s_mov_b64 s[10:11], s[8:9]
	s_branch .LBB1_2
.LBB1_9:
	v_add_f64 v[0:1], v[228:229], 0
	v_add_f64 v[0:1], v[226:227], v[0:1]
	v_add_f64 v[2:3], v[226:227], 0
	v_add_f64 v[0:1], v[222:223], v[0:1]
	v_add_f64 v[2:3], v[224:225], v[2:3]
	v_add_f64 v[0:1], v[218:219], v[0:1]
	v_add_f64 v[2:3], v[220:221], v[2:3]
	v_add_f64 v[0:1], v[212:213], v[0:1]
	v_add_f64 v[2:3], v[214:215], v[2:3]
	v_add_f64 v[0:1], v[206:207], v[0:1]
	v_add_f64 v[2:3], v[208:209], v[2:3]
	v_add_f64 v[0:1], v[198:199], v[0:1]
	v_add_f64 v[2:3], v[200:201], v[2:3]
	v_add_f64 v[0:1], v[188:189], v[0:1]
	v_add_f64 v[2:3], v[192:193], v[2:3]
	v_add_f64 v[0:1], v[178:179], v[0:1]
	v_add_f64 v[2:3], v[182:183], v[2:3]
	v_add_f64 v[0:1], v[166:167], v[0:1]
	v_add_f64 v[2:3], v[170:171], v[2:3]
	v_add_f64 v[0:1], v[154:155], v[0:1]
	v_add_f64 v[2:3], v[158:159], v[2:3]
	v_add_f64 v[0:1], v[114:115], v[0:1]
	v_add_f64 v[2:3], v[144:145], v[2:3]
	v_add_f64 v[0:1], v[0:1], 0
	v_add_f64 v[2:3], v[132:133], v[2:3]
	v_add_f64 v[0:1], v[2:3], v[0:1]
	v_add_f64 v[2:3], v[222:223], 0
	v_add_f64 v[2:3], v[220:221], v[2:3]
	v_add_f64 v[2:3], v[216:217], v[2:3]
	v_add_f64 v[2:3], v[210:211], v[2:3]
	v_add_f64 v[2:3], v[202:203], v[2:3]
	v_add_f64 v[2:3], v[194:195], v[2:3]
	v_add_f64 v[2:3], v[184:185], v[2:3]
	v_add_f64 v[2:3], v[172:173], v[2:3]
	v_add_f64 v[2:3], v[160:161], v[2:3]
	v_add_f64 v[2:3], v[146:147], v[2:3]
	v_add_f64 v[2:3], v[134:135], v[2:3]
	v_add_f64 v[2:3], v[112:113], v[2:3]
	v_add_f64 v[0:1], v[2:3], v[0:1]
	v_add_f64 v[2:3], v[218:219], 0
	v_add_f64 v[2:3], v[214:215], v[2:3]
	v_add_f64 v[2:3], v[210:211], v[2:3]
	v_add_f64 v[2:3], v[204:205], v[2:3]
	v_add_f64 v[2:3], v[196:197], v[2:3]
	v_add_f64 v[2:3], v[186:187], v[2:3]
	v_add_f64 v[2:3], v[176:177], v[2:3]
	v_add_f64 v[2:3], v[164:165], v[2:3]
	v_add_f64 v[2:3], v[150:151], v[2:3]
	v_add_f64 v[2:3], v[4:5], v[2:3]
	v_add_f64 v[2:3], v[126:127], v[2:3]
	v_add_f64 v[2:3], v[92:93], v[2:3]
	v_add_f64 v[0:1], v[2:3], v[0:1]
	v_add_f64 v[2:3], v[212:213], 0
	v_add_f64 v[2:3], v[208:209], v[2:3]
	v_add_f64 v[2:3], v[202:203], v[2:3]
	v_add_f64 v[2:3], v[196:197], v[2:3]
	v_add_f64 v[2:3], v[190:191], v[2:3]
	v_add_f64 v[2:3], v[180:181], v[2:3]
	v_add_f64 v[2:3], v[168:169], v[2:3]
	v_add_f64 v[2:3], v[156:157], v[2:3]
	v_add_f64 v[2:3], v[100:101], v[2:3]
	v_add_f64 v[2:3], v[130:131], v[2:3]
	v_add_f64 v[2:3], v[104:105], v[2:3]
	v_add_f64 v[2:3], v[68:69], v[2:3]
	v_add_f64 v[0:1], v[2:3], v[0:1]
	v_add_f64 v[2:3], v[206:207], 0
	v_add_f64 v[2:3], v[200:201], v[2:3]
	v_add_f64 v[2:3], v[194:195], v[2:3]
	v_add_f64 v[2:3], v[186:187], v[2:3]
	v_add_f64 v[2:3], v[180:181], v[2:3]
	v_add_f64 v[2:3], v[174:175], v[2:3]
	v_add_f64 v[2:3], v[162:163], v[2:3]
	v_add_f64 v[2:3], v[148:149], v[2:3]
	v_add_f64 v[2:3], v[136:137], v[2:3]
	v_add_f64 v[2:3], v[118:119], v[2:3]
	v_add_f64 v[2:3], v[78:79], v[2:3]
	v_add_f64 v[2:3], v[44:45], v[2:3]
	v_add_f64 v[0:1], v[2:3], v[0:1]
	v_add_f64 v[2:3], v[198:199], 0
	v_add_f64 v[2:3], v[192:193], v[2:3]
	v_add_f64 v[2:3], v[184:185], v[2:3]
	v_add_f64 v[2:3], v[176:177], v[2:3]
	v_add_f64 v[2:3], v[168:169], v[2:3]
	v_add_f64 v[2:3], v[162:163], v[2:3]
	v_add_f64 v[2:3], v[152:153], v[2:3]
	v_add_f64 v[2:3], v[140:141], v[2:3]
	v_add_f64 v[2:3], v[128:129], v[2:3]
	v_add_f64 v[2:3], v[96:97], v[2:3]
	v_add_f64 v[2:3], v[58:59], v[2:3]
	v_add_f64 v[2:3], v[28:29], v[2:3]
	v_add_f64 v[0:1], v[2:3], v[0:1]
	v_add_f64 v[2:3], v[188:189], 0
	v_add_f64 v[2:3], v[182:183], v[2:3]
	v_add_f64 v[2:3], v[172:173], v[2:3]
	v_add_f64 v[2:3], v[164:165], v[2:3]
	v_add_f64 v[2:3], v[156:157], v[2:3]
	v_add_f64 v[2:3], v[148:149], v[2:3]
	v_add_f64 v[2:3], v[140:141], v[2:3]
	v_add_f64 v[2:3], v[138:139], v[2:3]
	v_add_f64 v[2:3], v[124:125], v[2:3]
	v_add_f64 v[2:3], v[88:89], v[2:3]
	v_add_f64 v[2:3], v[48:49], v[2:3]
	v_add_f64 v[2:3], v[14:15], v[2:3]
	v_add_f64 v[0:1], v[2:3], v[0:1]
	v_add_f64 v[2:3], v[178:179], 0
	v_add_f64 v[2:3], v[170:171], v[2:3]
	v_add_f64 v[2:3], v[160:161], v[2:3]
	v_add_f64 v[2:3], v[150:151], v[2:3]
	v_add_f64 v[2:3], v[100:101], v[2:3]
	v_add_f64 v[2:3], v[136:137], v[2:3]
	v_add_f64 v[2:3], v[128:129], v[2:3]
	v_add_f64 v[2:3], v[124:125], v[2:3]
	v_add_f64 v[2:3], v[108:109], v[2:3]
	v_add_f64 v[2:3], v[72:73], v[2:3]
	v_add_f64 v[2:3], v[32:33], v[2:3]
	v_add_f64 v[2:3], v[12:13], v[2:3]
	v_add_f64 v[0:1], v[2:3], v[0:1]
	v_add_f64 v[2:3], v[166:167], 0
	v_add_f64 v[2:3], v[158:159], v[2:3]
	v_add_f64 v[2:3], v[146:147], v[2:3]
	v_add_f64 v[2:3], v[4:5], v[2:3]
	v_add_f64 v[2:3], v[130:131], v[2:3]
	v_add_f64 v[2:3], v[118:119], v[2:3]
	v_add_f64 v[2:3], v[96:97], v[2:3]
	v_add_f64 v[2:3], v[88:89], v[2:3]
	v_add_f64 v[2:3], v[72:73], v[2:3]
	v_add_f64 v[2:3], v[52:53], v[2:3]
	v_add_f64 v[2:3], v[18:19], v[2:3]
	v_add_f64 v[2:3], v[10:11], v[2:3]
	v_add_f64 v[0:1], v[2:3], v[0:1]
	v_add_f64 v[2:3], v[154:155], 0
	v_add_f64 v[2:3], v[144:145], v[2:3]
	v_add_f64 v[2:3], v[134:135], v[2:3]
	v_add_f64 v[2:3], v[126:127], v[2:3]
	v_add_f64 v[2:3], v[104:105], v[2:3]
	v_add_f64 v[2:3], v[78:79], v[2:3]
	v_add_f64 v[2:3], v[58:59], v[2:3]
	v_add_f64 v[2:3], v[48:49], v[2:3]
	v_add_f64 v[2:3], v[32:33], v[2:3]
	v_add_f64 v[2:3], v[18:19], v[2:3]
	v_add_f64 v[2:3], v[16:17], v[2:3]
	v_add_f64 v[2:3], v[8:9], v[2:3]
	v_add_f64 v[0:1], v[2:3], v[0:1]
	v_add_f64 v[2:3], v[114:115], 0
	v_add_f64 v[2:3], v[132:133], v[2:3]
	v_add_f64 v[2:3], v[112:113], v[2:3]
	v_add_f64 v[2:3], v[92:93], v[2:3]
	v_add_f64 v[2:3], v[68:69], v[2:3]
	v_add_f64 v[2:3], v[44:45], v[2:3]
	v_add_f64 v[2:3], v[28:29], v[2:3]
	v_add_f64 v[2:3], v[14:15], v[2:3]
	v_add_f64 v[2:3], v[12:13], v[2:3]
	v_add_f64 v[2:3], v[10:11], v[2:3]
	v_add_f64 v[2:3], v[8:9], v[2:3]
	v_accvgpr_read_b32 v5, a1
	v_add_f64 v[2:3], v[6:7], v[2:3]
	v_accvgpr_read_b32 v4, a0
	v_add_f64 v[0:1], v[2:3], v[0:1]
	v_mov_b32_e32 v3, s3
	v_add_co_u32_e32 v2, vcc, s2, v4
	v_addc_co_u32_e32 v3, vcc, v3, v5, vcc
	global_store_dwordx2 v[2:3], v[0:1], off
.LBB1_10:
	s_endpgm
	.section	.rodata,"a",@progbits
	.p2align	6, 0x0
	.amdhsa_kernel _ZN8rajaperf17lambda_hip_forallILm256EZNS_4apps6EDGE3D17runHipVariantImplILm256EEEvNS_9VariantIDEEUllE_EEvllT0_
		.amdhsa_group_segment_fixed_size 0
		.amdhsa_private_segment_fixed_size 0
		.amdhsa_kernarg_size 216
		.amdhsa_user_sgpr_count 6
		.amdhsa_user_sgpr_private_segment_buffer 1
		.amdhsa_user_sgpr_dispatch_ptr 0
		.amdhsa_user_sgpr_queue_ptr 0
		.amdhsa_user_sgpr_kernarg_segment_ptr 1
		.amdhsa_user_sgpr_dispatch_id 0
		.amdhsa_user_sgpr_flat_scratch_init 0
		.amdhsa_user_sgpr_kernarg_preload_length 0
		.amdhsa_user_sgpr_kernarg_preload_offset 0
		.amdhsa_user_sgpr_private_segment_size 0
		.amdhsa_uses_dynamic_stack 0
		.amdhsa_system_sgpr_private_segment_wavefront_offset 0
		.amdhsa_system_sgpr_workgroup_id_x 1
		.amdhsa_system_sgpr_workgroup_id_y 0
		.amdhsa_system_sgpr_workgroup_id_z 0
		.amdhsa_system_sgpr_workgroup_info 0
		.amdhsa_system_vgpr_workitem_id 0
		.amdhsa_next_free_vgpr 414
		.amdhsa_next_free_sgpr 52
		.amdhsa_accum_offset 256
		.amdhsa_reserve_vcc 1
		.amdhsa_reserve_flat_scratch 0
		.amdhsa_float_round_mode_32 0
		.amdhsa_float_round_mode_16_64 0
		.amdhsa_float_denorm_mode_32 3
		.amdhsa_float_denorm_mode_16_64 3
		.amdhsa_dx10_clamp 1
		.amdhsa_ieee_mode 1
		.amdhsa_fp16_overflow 0
		.amdhsa_tg_split 0
		.amdhsa_exception_fp_ieee_invalid_op 0
		.amdhsa_exception_fp_denorm_src 0
		.amdhsa_exception_fp_ieee_div_zero 0
		.amdhsa_exception_fp_ieee_overflow 0
		.amdhsa_exception_fp_ieee_underflow 0
		.amdhsa_exception_fp_ieee_inexact 0
		.amdhsa_exception_int_div_zero 0
	.end_amdhsa_kernel
	.section	.text._ZN8rajaperf17lambda_hip_forallILm256EZNS_4apps6EDGE3D17runHipVariantImplILm256EEEvNS_9VariantIDEEUllE_EEvllT0_,"axG",@progbits,_ZN8rajaperf17lambda_hip_forallILm256EZNS_4apps6EDGE3D17runHipVariantImplILm256EEEvNS_9VariantIDEEUllE_EEvllT0_,comdat
.Lfunc_end1:
	.size	_ZN8rajaperf17lambda_hip_forallILm256EZNS_4apps6EDGE3D17runHipVariantImplILm256EEEvNS_9VariantIDEEUllE_EEvllT0_, .Lfunc_end1-_ZN8rajaperf17lambda_hip_forallILm256EZNS_4apps6EDGE3D17runHipVariantImplILm256EEEvNS_9VariantIDEEUllE_EEvllT0_
                                        ; -- End function
	.section	.AMDGPU.csdata,"",@progbits
; Kernel info:
; codeLenInByte = 10644
; NumSgprs: 56
; NumVgprs: 256
; NumAgprs: 158
; TotalNumVgprs: 414
; ScratchSize: 0
; MemoryBound: 0
; FloatMode: 240
; IeeeMode: 1
; LDSByteSize: 0 bytes/workgroup (compile time only)
; SGPRBlocks: 6
; VGPRBlocks: 51
; NumSGPRsForWavesPerEU: 56
; NumVGPRsForWavesPerEU: 414
; AccumOffset: 256
; Occupancy: 1
; WaveLimiterHint : 0
; COMPUTE_PGM_RSRC2:SCRATCH_EN: 0
; COMPUTE_PGM_RSRC2:USER_SGPR: 6
; COMPUTE_PGM_RSRC2:TRAP_HANDLER: 0
; COMPUTE_PGM_RSRC2:TGID_X_EN: 1
; COMPUTE_PGM_RSRC2:TGID_Y_EN: 0
; COMPUTE_PGM_RSRC2:TGID_Z_EN: 0
; COMPUTE_PGM_RSRC2:TIDIG_COMP_CNT: 0
; COMPUTE_PGM_RSRC3_GFX90A:ACCUM_OFFSET: 63
; COMPUTE_PGM_RSRC3_GFX90A:TG_SPLIT: 0
	.section	.text._ZN4RAJA6policy3hip4impl18forallp_hip_kernelINS1_8hip_execINS_17iteration_mapping6DirectENS_3hip11IndexGlobalILNS_9named_dimE0ELi256ELi0EEENS7_40AvoidDeviceMaxThreadOccupancyConcretizerINS7_34FractionOffsetOccupancyConcretizerINS_8FractionImLm1ELm1EEELln1EEEEELb1EEENS_9Iterators16numeric_iteratorIllPlEEZN8rajaperf4apps6EDGE3D17runHipVariantImplILm256EEEvNSM_9VariantIDEEUllE0_lNS_4expt15ForallParamPackIJEEES6_SA_TnNSt9enable_ifIXaasr3std10is_base_ofINS5_10DirectBaseET4_EE5valuegtsrT5_10block_sizeLi0EEmE4typeELm256EEEvT1_T0_T2_T3_,"axG",@progbits,_ZN4RAJA6policy3hip4impl18forallp_hip_kernelINS1_8hip_execINS_17iteration_mapping6DirectENS_3hip11IndexGlobalILNS_9named_dimE0ELi256ELi0EEENS7_40AvoidDeviceMaxThreadOccupancyConcretizerINS7_34FractionOffsetOccupancyConcretizerINS_8FractionImLm1ELm1EEELln1EEEEELb1EEENS_9Iterators16numeric_iteratorIllPlEEZN8rajaperf4apps6EDGE3D17runHipVariantImplILm256EEEvNSM_9VariantIDEEUllE0_lNS_4expt15ForallParamPackIJEEES6_SA_TnNSt9enable_ifIXaasr3std10is_base_ofINS5_10DirectBaseET4_EE5valuegtsrT5_10block_sizeLi0EEmE4typeELm256EEEvT1_T0_T2_T3_,comdat
	.protected	_ZN4RAJA6policy3hip4impl18forallp_hip_kernelINS1_8hip_execINS_17iteration_mapping6DirectENS_3hip11IndexGlobalILNS_9named_dimE0ELi256ELi0EEENS7_40AvoidDeviceMaxThreadOccupancyConcretizerINS7_34FractionOffsetOccupancyConcretizerINS_8FractionImLm1ELm1EEELln1EEEEELb1EEENS_9Iterators16numeric_iteratorIllPlEEZN8rajaperf4apps6EDGE3D17runHipVariantImplILm256EEEvNSM_9VariantIDEEUllE0_lNS_4expt15ForallParamPackIJEEES6_SA_TnNSt9enable_ifIXaasr3std10is_base_ofINS5_10DirectBaseET4_EE5valuegtsrT5_10block_sizeLi0EEmE4typeELm256EEEvT1_T0_T2_T3_ ; -- Begin function _ZN4RAJA6policy3hip4impl18forallp_hip_kernelINS1_8hip_execINS_17iteration_mapping6DirectENS_3hip11IndexGlobalILNS_9named_dimE0ELi256ELi0EEENS7_40AvoidDeviceMaxThreadOccupancyConcretizerINS7_34FractionOffsetOccupancyConcretizerINS_8FractionImLm1ELm1EEELln1EEEEELb1EEENS_9Iterators16numeric_iteratorIllPlEEZN8rajaperf4apps6EDGE3D17runHipVariantImplILm256EEEvNSM_9VariantIDEEUllE0_lNS_4expt15ForallParamPackIJEEES6_SA_TnNSt9enable_ifIXaasr3std10is_base_ofINS5_10DirectBaseET4_EE5valuegtsrT5_10block_sizeLi0EEmE4typeELm256EEEvT1_T0_T2_T3_
	.globl	_ZN4RAJA6policy3hip4impl18forallp_hip_kernelINS1_8hip_execINS_17iteration_mapping6DirectENS_3hip11IndexGlobalILNS_9named_dimE0ELi256ELi0EEENS7_40AvoidDeviceMaxThreadOccupancyConcretizerINS7_34FractionOffsetOccupancyConcretizerINS_8FractionImLm1ELm1EEELln1EEEEELb1EEENS_9Iterators16numeric_iteratorIllPlEEZN8rajaperf4apps6EDGE3D17runHipVariantImplILm256EEEvNSM_9VariantIDEEUllE0_lNS_4expt15ForallParamPackIJEEES6_SA_TnNSt9enable_ifIXaasr3std10is_base_ofINS5_10DirectBaseET4_EE5valuegtsrT5_10block_sizeLi0EEmE4typeELm256EEEvT1_T0_T2_T3_
	.p2align	8
	.type	_ZN4RAJA6policy3hip4impl18forallp_hip_kernelINS1_8hip_execINS_17iteration_mapping6DirectENS_3hip11IndexGlobalILNS_9named_dimE0ELi256ELi0EEENS7_40AvoidDeviceMaxThreadOccupancyConcretizerINS7_34FractionOffsetOccupancyConcretizerINS_8FractionImLm1ELm1EEELln1EEEEELb1EEENS_9Iterators16numeric_iteratorIllPlEEZN8rajaperf4apps6EDGE3D17runHipVariantImplILm256EEEvNSM_9VariantIDEEUllE0_lNS_4expt15ForallParamPackIJEEES6_SA_TnNSt9enable_ifIXaasr3std10is_base_ofINS5_10DirectBaseET4_EE5valuegtsrT5_10block_sizeLi0EEmE4typeELm256EEEvT1_T0_T2_T3_,@function
_ZN4RAJA6policy3hip4impl18forallp_hip_kernelINS1_8hip_execINS_17iteration_mapping6DirectENS_3hip11IndexGlobalILNS_9named_dimE0ELi256ELi0EEENS7_40AvoidDeviceMaxThreadOccupancyConcretizerINS7_34FractionOffsetOccupancyConcretizerINS_8FractionImLm1ELm1EEELln1EEEEELb1EEENS_9Iterators16numeric_iteratorIllPlEEZN8rajaperf4apps6EDGE3D17runHipVariantImplILm256EEEvNSM_9VariantIDEEUllE0_lNS_4expt15ForallParamPackIJEEES6_SA_TnNSt9enable_ifIXaasr3std10is_base_ofINS5_10DirectBaseET4_EE5valuegtsrT5_10block_sizeLi0EEmE4typeELm256EEEvT1_T0_T2_T3_: ; @_ZN4RAJA6policy3hip4impl18forallp_hip_kernelINS1_8hip_execINS_17iteration_mapping6DirectENS_3hip11IndexGlobalILNS_9named_dimE0ELi256ELi0EEENS7_40AvoidDeviceMaxThreadOccupancyConcretizerINS7_34FractionOffsetOccupancyConcretizerINS_8FractionImLm1ELm1EEELln1EEEEELb1EEENS_9Iterators16numeric_iteratorIllPlEEZN8rajaperf4apps6EDGE3D17runHipVariantImplILm256EEEvNSM_9VariantIDEEUllE0_lNS_4expt15ForallParamPackIJEEES6_SA_TnNSt9enable_ifIXaasr3std10is_base_ofINS5_10DirectBaseET4_EE5valuegtsrT5_10block_sizeLi0EEmE4typeELm256EEEvT1_T0_T2_T3_
; %bb.0:
	s_load_dwordx2 s[0:1], s[4:5], 0xd0
	s_mov_b32 s7, 0
	s_lshl_b64 s[2:3], s[6:7], 8
	v_or_b32_e32 v0, s2, v0
	v_mov_b32_e32 v1, s3
	s_waitcnt lgkmcnt(0)
	v_cmp_gt_i64_e32 vcc, s[0:1], v[0:1]
	s_and_saveexec_b64 s[0:1], vcc
	s_cbranch_execz .LBB2_10
; %bb.1:
	s_load_dwordx4 s[24:27], s[4:5], 0xc0
	s_load_dwordx16 s[8:23], s[4:5], 0x40
	s_load_dwordx16 s[36:51], s[4:5], 0x0
	s_waitcnt lgkmcnt(0)
	v_mov_b32_e32 v2, s27
	v_add_co_u32_e32 v0, vcc, s26, v0
	v_addc_co_u32_e32 v1, vcc, v1, v2, vcc
	v_lshlrev_b64 v[62:63], 3, v[0:1]
	v_mov_b32_e32 v1, s37
	v_add_co_u32_e32 v0, vcc, s36, v62
	v_addc_co_u32_e32 v1, vcc, v1, v63, vcc
	v_mov_b32_e32 v3, s39
	v_add_co_u32_e32 v2, vcc, s38, v62
	v_addc_co_u32_e32 v3, vcc, v3, v63, vcc
	;; [unrolled: 3-line block ×13, first 2 shown]
	global_load_dwordx2 v[0:1], v[0:1], off
	v_mov_b32_e32 v27, s19
	global_load_dwordx2 v[8:9], v[8:9], off
	v_add_co_u32_e32 v26, vcc, s18, v62
	v_addc_co_u32_e32 v27, vcc, v27, v63, vcc
	s_load_dwordx16 s[0:15], s[4:5], 0x80
	global_load_dwordx2 v[2:3], v[2:3], off
	v_mov_b32_e32 v29, s21
	global_load_dwordx2 v[10:11], v[10:11], off
	v_add_co_u32_e32 v28, vcc, s20, v62
	v_addc_co_u32_e32 v29, vcc, v29, v63, vcc
	global_load_dwordx2 v[4:5], v[4:5], off
	v_mov_b32_e32 v31, s23
	global_load_dwordx2 v[12:13], v[12:13], off
	v_add_co_u32_e32 v30, vcc, s22, v62
	v_addc_co_u32_e32 v31, vcc, v31, v63, vcc
	global_load_dwordx2 v[6:7], v[6:7], off
	s_waitcnt lgkmcnt(0)
	v_mov_b32_e32 v33, s1
	global_load_dwordx2 v[14:15], v[14:15], off
	v_add_co_u32_e32 v32, vcc, s0, v62
	v_addc_co_u32_e32 v33, vcc, v33, v63, vcc
	global_load_dwordx2 v[16:17], v[16:17], off
	v_mov_b32_e32 v35, s3
	global_load_dwordx2 v[24:25], v[24:25], off
	v_add_co_u32_e32 v34, vcc, s2, v62
	v_addc_co_u32_e32 v35, vcc, v35, v63, vcc
	global_load_dwordx2 v[18:19], v[18:19], off
	v_mov_b32_e32 v37, s5
	global_load_dwordx2 v[26:27], v[26:27], off
	v_add_co_u32_e32 v36, vcc, s4, v62
	v_addc_co_u32_e32 v37, vcc, v37, v63, vcc
	global_load_dwordx2 v[20:21], v[20:21], off
	v_mov_b32_e32 v39, s7
	global_load_dwordx2 v[28:29], v[28:29], off
	v_add_co_u32_e32 v38, vcc, s6, v62
	v_addc_co_u32_e32 v39, vcc, v39, v63, vcc
	global_load_dwordx2 v[22:23], v[22:23], off
	v_mov_b32_e32 v41, s9
	global_load_dwordx2 v[30:31], v[30:31], off
	v_add_co_u32_e32 v40, vcc, s8, v62
	v_addc_co_u32_e32 v41, vcc, v41, v63, vcc
	v_mov_b32_e32 v43, s11
	v_add_co_u32_e32 v42, vcc, s10, v62
	v_addc_co_u32_e32 v43, vcc, v43, v63, vcc
	v_mov_b32_e32 v45, s13
	;; [unrolled: 3-line block ×3, first 2 shown]
	global_load_dwordx2 v[46:47], v[34:35], off
	global_load_dwordx2 v[48:49], v[42:43], off
	;; [unrolled: 1-line block ×7, first 2 shown]
	v_add_co_u32_e32 v32, vcc, s14, v62
	v_addc_co_u32_e32 v33, vcc, v60, v63, vcc
	global_load_dwordx2 v[32:33], v[32:33], off
	s_mov_b32 s2, 0x74df99c7
	v_accvgpr_write_b32 a0, v62
	s_mov_b32 s3, 0x3fcb0cb1
	s_mov_b32 s4, 0x4ad4b81f
	;; [unrolled: 1-line block ×3, first 2 shown]
	v_accvgpr_write_b32 a1, v63
	s_mov_b64 s[0:1], -1
	s_mov_b32 s5, 0x358dee7a
	s_waitcnt vmcnt(22)
	v_add_f64 v[34:35], v[8:9], -v[0:1]
	v_accvgpr_write_b32 a20, v34
	v_accvgpr_write_b32 a21, v35
	s_mov_b32 s7, 0x3fe93cd3
	s_mov_b64 s[8:9], s[2:3]
	s_waitcnt vmcnt(20)
	v_add_f64 v[34:35], v[10:11], -v[2:3]
	v_accvgpr_write_b32 a22, v34
	v_accvgpr_write_b32 a23, v35
	v_add_f64 v[60:61], v[10:11], -v[8:9]
	s_waitcnt vmcnt(19)
	v_add_f64 v[44:45], v[4:5], -v[2:3]
	s_waitcnt vmcnt(18)
	v_add_f64 v[34:35], v[12:13], -v[4:5]
	v_accvgpr_write_b32 a24, v34
	v_accvgpr_write_b32 a25, v35
	v_add_f64 v[68:69], v[12:13], -v[10:11]
	s_waitcnt vmcnt(17)
	v_add_f64 v[36:37], v[6:7], -v[0:1]
	v_add_f64 v[40:41], v[4:5], -v[6:7]
	s_waitcnt vmcnt(16)
	v_add_f64 v[34:35], v[14:15], -v[6:7]
	v_accvgpr_write_b32 a28, v34
	v_accvgpr_write_b32 a29, v35
	v_pk_mov_b32 v[6:7], 0, 0
	v_add_f64 v[62:63], v[14:15], -v[8:9]
	v_add_f64 v[64:65], v[12:13], -v[14:15]
	v_pk_mov_b32 v[8:9], v[6:7], v[6:7] op_sel:[0,1]
	s_waitcnt vmcnt(14)
	v_add_f64 v[34:35], v[24:25], -v[16:17]
	v_accvgpr_write_b32 a32, v34
	v_accvgpr_write_b32 a33, v35
	v_pk_mov_b32 v[10:11], v[6:7], v[6:7] op_sel:[0,1]
	v_pk_mov_b32 v[12:13], v[6:7], v[6:7] op_sel:[0,1]
	s_waitcnt vmcnt(13)
	v_add_f64 v[72:73], v[18:19], -v[16:17]
	v_pk_mov_b32 v[70:71], v[6:7], v[6:7] op_sel:[0,1]
	s_waitcnt vmcnt(12)
	v_add_f64 v[34:35], v[26:27], -v[18:19]
	v_accvgpr_write_b32 a34, v34
	v_accvgpr_write_b32 a35, v35
	v_add_f64 v[80:81], v[26:27], -v[24:25]
	v_pk_mov_b32 v[106:107], v[6:7], v[6:7] op_sel:[0,1]
	s_waitcnt vmcnt(11)
	v_add_f64 v[78:79], v[20:21], -v[18:19]
	v_pk_mov_b32 v[18:19], v[6:7], v[6:7] op_sel:[0,1]
	s_waitcnt vmcnt(10)
	v_add_f64 v[34:35], v[28:29], -v[20:21]
	v_accvgpr_write_b32 a37, v35
	v_accvgpr_write_b32 a36, v34
	v_add_f64 v[88:89], v[28:29], -v[26:27]
	;; [unrolled: 9-line block ×3, first 2 shown]
	v_add_f64 v[22:23], v[20:21], -v[22:23]
	v_add_f64 v[82:83], v[30:31], -v[24:25]
	;; [unrolled: 1-line block ×3, first 2 shown]
	v_pk_mov_b32 v[30:31], v[6:7], v[6:7] op_sel:[0,1]
	v_pk_mov_b32 v[86:87], v[6:7], v[6:7] op_sel:[0,1]
	;; [unrolled: 1-line block ×4, first 2 shown]
	s_waitcnt vmcnt(6)
	v_add_f64 v[0:1], v[48:49], -v[46:47]
	v_accvgpr_write_b32 a89, v1
	v_accvgpr_write_b32 a88, v0
	s_waitcnt vmcnt(3)
	v_add_f64 v[0:1], v[54:55], -v[52:53]
	v_accvgpr_write_b32 a99, v1
	v_accvgpr_write_b32 a98, v0
	;; [unrolled: 4-line block ×3, first 2 shown]
	v_add_f64 v[28:29], v[46:47], -v[50:51]
	s_waitcnt vmcnt(0)
	v_add_f64 v[0:1], v[32:33], -v[56:57]
	v_accvgpr_write_b32 a113, v1
	v_add_f64 v[92:93], v[52:53], -v[46:47]
	v_add_f64 v[52:53], v[52:53], -v[56:57]
	;; [unrolled: 1-line block ×3, first 2 shown]
	v_accvgpr_write_b32 a112, v0
	v_add_f64 v[98:99], v[48:49], -v[58:59]
	v_add_f64 v[58:59], v[32:33], -v[58:59]
	;; [unrolled: 1-line block ×4, first 2 shown]
	v_pk_mov_b32 v[50:51], v[6:7], v[6:7] op_sel:[0,1]
	v_pk_mov_b32 v[46:47], v[6:7], v[6:7] op_sel:[0,1]
	;; [unrolled: 1-line block ×65, first 2 shown]
.LBB2_2:                                ; =>This Loop Header: Depth=1
                                        ;     Child Loop BB2_3 Depth 2
                                        ;       Child Loop BB2_4 Depth 3
	s_xor_b64 s[10:11], s[0:1], -1
	v_add_f64 v[142:143], -s[8:9], 1.0
	s_mov_b64 s[0:1], -1
	s_mov_b64 s[12:13], s[2:3]
.LBB2_3:                                ;   Parent Loop BB2_2 Depth=1
                                        ; =>  This Loop Header: Depth=2
                                        ;       Child Loop BB2_4 Depth 3
	v_add_f64 v[2:3], -s[12:13], 1.0
	v_pk_mov_b32 v[0:1], s[12:13], s[12:13] op_sel:[0,1]
	v_mul_f64 v[24:25], s[8:9], v[0:1]
	v_accvgpr_write_b32 a137, v3
	v_accvgpr_read_b32 v0, a22
	v_mul_f64 v[20:21], v[142:143], v[2:3]
	v_accvgpr_write_b32 a136, v2
	v_mul_f64 v[2:3], s[8:9], v[2:3]
	v_accvgpr_read_b32 v1, a23
	v_mul_f64 v[54:55], v[0:1], v[2:3]
	v_accvgpr_read_b32 v0, a20
	v_accvgpr_read_b32 v1, a21
	v_fmac_f64_e32 v[54:55], v[0:1], v[20:21]
	v_accvgpr_read_b32 v0, a24
	v_accvgpr_read_b32 v1, a25
	v_fmac_f64_e32 v[54:55], v[0:1], v[24:25]
	v_accvgpr_read_b32 v0, a28
	v_mul_f64 v[38:39], v[142:143], s[12:13]
	v_accvgpr_read_b32 v1, a29
	v_fmac_f64_e32 v[54:55], v[0:1], v[38:39]
	v_accvgpr_read_b32 v0, a34
	v_accvgpr_write_b32 a147, v55
	v_accvgpr_read_b32 v1, a35
	v_accvgpr_write_b32 a146, v54
	v_mul_f64 v[54:55], v[0:1], v[2:3]
	v_accvgpr_read_b32 v0, a32
	v_accvgpr_read_b32 v1, a33
	v_fmac_f64_e32 v[54:55], v[0:1], v[20:21]
	v_accvgpr_read_b32 v0, a36
	v_accvgpr_read_b32 v1, a37
	v_fmac_f64_e32 v[54:55], v[0:1], v[24:25]
	;; [unrolled: 3-line block ×3, first 2 shown]
	v_accvgpr_read_b32 v0, a88
	v_accvgpr_read_b32 v1, a89
	v_accvgpr_write_b32 a145, v3
	v_accvgpr_write_b32 a144, v2
	v_mul_f64 v[2:3], v[0:1], v[2:3]
	v_accvgpr_read_b32 v0, a104
	v_accvgpr_read_b32 v1, a105
	v_fmac_f64_e32 v[2:3], v[0:1], v[20:21]
	v_accvgpr_read_b32 v0, a98
	v_accvgpr_read_b32 v1, a99
	v_fmac_f64_e32 v[2:3], v[0:1], v[24:25]
	;; [unrolled: 3-line block ×3, first 2 shown]
	v_accvgpr_write_b32 a149, v55
	v_accvgpr_write_b32 a139, v21
	;; [unrolled: 1-line block ×5, first 2 shown]
	s_mov_b64 s[18:19], -1
	s_xor_b64 s[14:15], s[0:1], -1
	v_accvgpr_write_b32 a148, v54
	v_accvgpr_write_b32 a138, v20
	;; [unrolled: 1-line block ×5, first 2 shown]
	s_mov_b64 s[16:17], s[2:3]
.LBB2_4:                                ;   Parent Loop BB2_2 Depth=1
                                        ;     Parent Loop BB2_3 Depth=2
                                        ; =>    This Inner Loop Header: Depth=3
	v_add_f64 v[24:25], -s[16:17], 1.0
	v_accvgpr_read_b32 v104, a136
	v_accvgpr_write_b32 a12, v16
	v_accvgpr_write_b32 a8, v12
	v_accvgpr_read_b32 v105, a137
	v_accvgpr_write_b32 a13, v17
	v_mul_f64 v[16:17], s[12:13], v[24:25]
	v_accvgpr_write_b32 a73, v23
	v_cndmask_b32_e64 v0, 0, 1, s[18:19]
	v_accvgpr_write_b32 a9, v13
	v_mul_f64 v[12:13], v[104:105], v[24:25]
	v_accvgpr_write_b32 a10, v14
	v_mul_f64 v[20:21], v[22:23], v[16:17]
	;; [unrolled: 2-line block ×3, first 2 shown]
	v_accvgpr_write_b32 a157, v4            ;  Reload Reuse
	v_cmp_ne_u32_e64 s[0:1], 1, v0
	v_pk_mov_b32 v[0:1], s[16:17], s[16:17] op_sel:[0,1]
	v_accvgpr_write_b32 a2, v6
	v_accvgpr_write_b32 a11, v15
	v_mul_f64 v[14:15], v[104:105], s[16:17]
	v_fmac_f64_e32 v[22:23], v[28:29], v[12:13]
	v_accvgpr_write_b32 a156, v5            ;  Reload Reuse
	v_mul_f64 v[4:5], v[142:143], v[24:25]
	v_accvgpr_write_b32 a3, v7
	v_mul_f64 v[6:7], s[12:13], v[0:1]
	v_accvgpr_write_b32 a6, v10
	v_fmac_f64_e32 v[22:23], v[98:99], v[14:15]
	v_accvgpr_write_b32 a121, v33
	v_accvgpr_write_b32 a4, v8
	;; [unrolled: 1-line block ×3, first 2 shown]
	v_mul_f64 v[10:11], s[8:9], v[24:25]
	v_mul_f64 v[2:3], v[40:41], v[16:17]
	v_fmac_f64_e32 v[22:23], v[32:33], v[6:7]
	v_accvgpr_write_b32 a120, v32
	v_mul_f64 v[32:33], v[74:75], v[4:5]
	v_accvgpr_write_b32 a41, v35
	v_accvgpr_write_b32 a5, v9
	v_mul_f64 v[8:9], v[142:143], s[16:17]
	v_fmac_f64_e32 v[2:3], v[34:35], v[12:13]
	v_accvgpr_write_b32 a93, v29
	v_fmac_f64_e32 v[32:33], v[78:79], v[10:11]
	v_accvgpr_write_b32 a40, v34
	v_mul_f64 v[34:35], v[96:97], v[4:5]
	v_accvgpr_write_b32 a153, v100          ;  Reload Reuse
	v_mul_f64 v[38:39], s[8:9], v[0:1]
	v_fmac_f64_e32 v[20:21], v[72:73], v[12:13]
	v_accvgpr_write_b32 a92, v28
	v_mul_f64 v[28:29], v[36:37], v[4:5]
	v_fmac_f64_e32 v[32:33], v[82:83], v[8:9]
	v_fmac_f64_e32 v[34:35], v[92:93], v[10:11]
	v_accvgpr_write_b32 a152, v101          ;  Reload Reuse
	v_fmac_f64_e32 v[20:21], v[80:81], v[14:15]
	v_fmac_f64_e32 v[28:29], v[44:45], v[10:11]
	;; [unrolled: 1-line block ×4, first 2 shown]
	v_accvgpr_write_b32 a14, v18
	v_accvgpr_read_b32 v100, a146
	v_fmac_f64_e32 v[20:21], v[84:85], v[6:7]
	v_fmac_f64_e32 v[28:29], v[62:63], v[8:9]
	;; [unrolled: 1-line block ×3, first 2 shown]
	v_accvgpr_write_b32 a15, v19
	v_mul_f64 v[18:19], v[32:33], v[22:23]
	v_accvgpr_write_b32 a16, v26
	v_accvgpr_read_b32 v101, a147
	v_fmac_f64_e32 v[2:3], v[60:61], v[14:15]
	v_fmac_f64_e32 v[28:29], v[68:69], v[38:39]
	v_mul_f64 v[0:1], v[20:21], v[34:35]
	v_accvgpr_write_b32 a17, v27
	v_mul_f64 v[26:27], v[100:101], v[18:19]
	v_accvgpr_read_b32 v108, a148
	v_fmac_f64_e32 v[2:3], v[64:65], v[6:7]
	v_fma_f64 v[0:1], v[100:101], v[0:1], -v[26:27]
	v_mul_f64 v[26:27], v[28:29], v[22:23]
	v_accvgpr_read_b32 v109, a149
	v_fmac_f64_e32 v[0:1], v[108:109], v[26:27]
	v_mul_f64 v[26:27], v[2:3], v[34:35]
	v_accvgpr_write_b32 a18, v30
	v_accvgpr_read_b32 v112, a150
	v_fma_f64 v[0:1], -v[108:109], v[26:27], v[0:1]
	v_accvgpr_write_b32 a19, v31
	v_mul_f64 v[30:31], v[28:29], v[20:21]
	v_accvgpr_read_b32 v113, a151
	v_accvgpr_write_b32 a45, v37
	v_fma_f64 v[0:1], -v[112:113], v[30:31], v[0:1]
	v_accvgpr_write_b32 a44, v36
	v_mul_f64 v[36:37], v[2:3], v[32:33]
	v_fmac_f64_e32 v[0:1], v[112:113], v[36:37]
	v_add_f64 v[36:37], v[0:1], s[4:5]
	v_accvgpr_write_b32 a49, v41
	v_accvgpr_write_b32 a48, v40
	v_div_scale_f64 v[40:41], s[18:19], v[36:37], v[36:37], 1.0
	v_accvgpr_write_b32 a26, v42
	v_accvgpr_write_b32 a27, v43
	v_rcp_f64_e32 v[42:43], v[40:41]
	v_accvgpr_write_b32 a53, v45
	v_accvgpr_write_b32 a52, v44
	;; [unrolled: 1-line block ×3, first 2 shown]
	v_fma_f64 v[44:45], -v[40:41], v[42:43], 1.0
	v_fmac_f64_e32 v[42:43], v[42:43], v[44:45]
	v_fma_f64 v[44:45], -v[40:41], v[42:43], 1.0
	v_fmac_f64_e32 v[42:43], v[42:43], v[44:45]
	v_div_scale_f64 v[44:45], vcc, 1.0, v[36:37], 1.0
	v_accvgpr_write_b32 a31, v47
	v_mul_f64 v[46:47], v[44:45], v[42:43]
	v_fma_f64 v[40:41], -v[40:41], v[46:47], v[44:45]
	s_nop 0
	v_div_fmas_f64 v[40:41], v[40:41], v[42:43], v[46:47]
	v_div_fixup_f64 v[36:37], v[40:41], v[36:37], 1.0
	v_fma_f64 v[18:19], v[20:21], v[34:35], -v[18:19]
	v_accvgpr_write_b32 a123, v49
	v_accvgpr_write_b32 a122, v48
	v_mul_f64 v[48:49], v[18:19], v[36:37]
	v_mul_f64 v[18:19], v[112:113], v[28:29]
	v_fma_f64 v[18:19], v[100:101], v[34:35], -v[18:19]
	v_accvgpr_write_b32 a101, v53
	v_accvgpr_write_b32 a100, v52
	v_mul_f64 v[52:53], v[18:19], v[36:37]
	v_mul_f64 v[18:19], v[100:101], v[22:23]
	v_fma_f64 v[18:19], v[112:113], v[2:3], -v[18:19]
	v_mul_f64 v[54:55], v[18:19], v[36:37]
	v_fma_f64 v[18:19], v[28:29], v[22:23], -v[26:27]
	v_accvgpr_write_b32 a119, v59
	v_accvgpr_write_b32 a118, v58
	v_mul_f64 v[58:59], v[18:19], v[36:37]
	v_mul_f64 v[18:19], v[100:101], v[32:33]
	v_fma_f64 v[18:19], v[108:109], v[28:29], -v[18:19]
	v_mul_f64 v[40:41], v[108:109], v[34:35]
	v_mul_f64 v[26:27], v[18:19], v[36:37]
	;; [unrolled: 1-line block ×3, first 2 shown]
	v_fma_f64 v[40:41], v[112:113], v[32:33], -v[40:41]
	v_mul_f64 v[42:43], v[112:113], v[20:21]
	v_fma_f64 v[18:19], v[100:101], v[20:21], -v[18:19]
	v_accvgpr_write_b32 a54, v60
	v_mul_f64 v[40:41], v[40:41], v[36:37]
	v_fma_f64 v[42:43], v[108:109], v[22:23], -v[42:43]
	v_accvgpr_write_b32 a55, v61
	v_mul_f64 v[60:61], v[18:19], v[36:37]
	v_accvgpr_write_b32 a82, v84
	v_accvgpr_write_b32 a97, v93
	;; [unrolled: 1-line block ×3, first 2 shown]
	v_mul_f64 v[44:45], v[42:43], v[36:37]
	v_fma_f64 v[18:19], v[2:3], v[32:33], -v[30:31]
	v_accvgpr_write_b32 a58, v62
	v_accvgpr_write_b32 a42, v50
	v_mul_f64 v[46:47], v[60:61], 0
	v_accvgpr_write_b32 a90, v102
	v_accvgpr_write_b32 a70, v86
	;; [unrolled: 1-line block ×4, first 2 shown]
	v_mul_f64 v[84:85], v[40:41], 0
	v_accvgpr_write_b32 a96, v92
	v_mul_f64 v[92:93], v[52:53], 0
	v_accvgpr_write_b32 a69, v75
	;; [unrolled: 2-line block ×3, first 2 shown]
	v_mul_f64 v[62:63], v[18:19], v[36:37]
	v_mul_f64 v[42:43], v[44:45], 0
	v_accvgpr_write_b32 a86, v94
	v_accvgpr_write_b32 a43, v51
	v_mul_f64 v[50:51], v[54:55], 0
	v_accvgpr_write_b32 a94, v106
	v_accvgpr_write_b32 a91, v103
	v_fma_f64 v[102:103], v[12:13], v[26:27], v[46:47]
	v_accvgpr_write_b32 a66, v76
	v_accvgpr_write_b32 a76, v90
	;; [unrolled: 1-line block ×3, first 2 shown]
	v_fma_f64 v[86:87], v[16:17], v[26:27], v[46:47]
	v_accvgpr_write_b32 a46, v56
	v_accvgpr_write_b32 a56, v70
	;; [unrolled: 1-line block ×3, first 2 shown]
	v_fma_f64 v[66:67], v[14:15], v[26:27], v[46:47]
	v_fmac_f64_e32 v[46:47], v[6:7], v[26:27]
	v_fma_f64 v[18:19], v[4:5], v[44:45], v[84:85]
	v_fma_f64 v[30:31], v[4:5], v[54:55], v[92:93]
	;; [unrolled: 1-line block ×6, first 2 shown]
	v_accvgpr_read_b32 v38, a138
	v_accvgpr_write_b32 a87, v95
	v_fma_f64 v[94:95], v[12:13], v[40:41], v[42:43]
	v_accvgpr_write_b32 a95, v107
	v_fma_f64 v[106:107], v[12:13], v[52:53], v[50:51]
	;; [unrolled: 2-line block ×6, first 2 shown]
	v_fmac_f64_e32 v[42:43], v[6:7], v[40:41]
	v_fmac_f64_e32 v[50:51], v[6:7], v[52:53]
	v_fma_f64 v[12:13], v[10:11], v[44:45], v[84:85]
	v_fma_f64 v[16:17], v[10:11], v[54:55], v[92:93]
	;; [unrolled: 1-line block ×6, first 2 shown]
	v_fmac_f64_e32 v[84:85], 0, v[44:45]
	v_accvgpr_read_b32 v39, a139
	v_fmac_f64_e32 v[92:93], 0, v[54:55]
	v_fmac_f64_e32 v[74:75], 0, v[60:61]
	v_fma_f64 v[238:239], v[38:39], v[48:49], v[84:85]
	v_fma_f64 v[230:231], v[38:39], v[58:59], v[92:93]
	;; [unrolled: 1-line block ×3, first 2 shown]
	v_accvgpr_read_b32 v38, a144
	v_accvgpr_read_b32 v39, a145
	v_fma_f64 v[122:123], v[38:39], v[48:49], v[84:85]
	v_fma_f64 v[236:237], v[38:39], v[58:59], v[92:93]
	;; [unrolled: 1-line block ×3, first 2 shown]
	v_accvgpr_read_b32 v38, a142
	v_accvgpr_write_b32 a155, v114          ;  Reload Reuse
	v_accvgpr_read_b32 v39, a143
	v_accvgpr_write_b32 a154, v115          ;  Reload Reuse
	v_fma_f64 v[114:115], v[38:39], v[48:49], v[84:85]
	v_fma_f64 v[120:121], v[38:39], v[58:59], v[92:93]
	;; [unrolled: 1-line block ×3, first 2 shown]
	v_accvgpr_read_b32 v38, a140
	v_add_f64 v[36:37], |v[0:1]|, s[4:5]
	v_accvgpr_read_b32 v39, a141
	v_fmac_f64_e32 v[84:85], v[38:39], v[48:49]
	v_fmac_f64_e32 v[92:93], v[38:39], v[58:59]
	;; [unrolled: 1-line block ×3, first 2 shown]
	v_div_scale_f64 v[38:39], s[18:19], v[36:37], v[36:37], 1.0
	v_rcp_f64_e32 v[40:41], v[38:39]
	v_fmac_f64_e32 v[94:95], 0, v[48:49]
	v_fmac_f64_e32 v[76:77], 0, v[48:49]
	;; [unrolled: 1-line block ×3, first 2 shown]
	v_fma_f64 v[44:45], -v[38:39], v[40:41], 1.0
	v_fmac_f64_e32 v[40:41], v[40:41], v[44:45]
	v_fma_f64 v[44:45], -v[38:39], v[40:41], 1.0
	v_fmac_f64_e32 v[40:41], v[40:41], v[44:45]
	v_div_scale_f64 v[44:45], vcc, 1.0, v[36:37], 1.0
	v_fmac_f64_e32 v[42:43], 0, v[48:49]
	v_fmac_f64_e32 v[18:19], 0, v[48:49]
	v_fmac_f64_e32 v[12:13], 0, v[48:49]
	v_fmac_f64_e32 v[6:7], 0, v[48:49]
	v_fmac_f64_e32 v[244:245], 0, v[48:49]
	v_mul_f64 v[48:49], v[44:45], v[40:41]
	v_fma_f64 v[38:39], -v[38:39], v[48:49], v[44:45]
	v_div_fmas_f64 v[38:39], v[38:39], v[40:41], v[48:49]
	v_div_fixup_f64 v[36:37], v[38:39], v[36:37], 1.0
	v_accvgpr_write_b32 a124, v128
	v_accvgpr_write_b32 a125, v129
	v_mul_f64 v[128:129], v[2:3], v[36:37]
	v_accvgpr_write_b32 a110, v124
	v_mul_f64 v[38:39], v[28:29], v[36:37]
	v_accvgpr_write_b32 a126, v130
	v_accvgpr_write_b32 a111, v125
	v_mul_f64 v[124:125], v[20:21], v[36:37]
	v_accvgpr_write_b32 a116, v126
	v_accvgpr_write_b32 a106, v116
	;; [unrolled: 1-line block ×3, first 2 shown]
	v_mul_f64 v[20:21], v[128:129], 0
	v_accvgpr_write_b32 a127, v131
	v_mul_f64 v[130:131], v[100:101], v[36:37]
	v_mul_f64 v[40:41], v[32:33], v[36:37]
	v_accvgpr_write_b32 a117, v127
	v_mul_f64 v[126:127], v[108:109], v[36:37]
	v_accvgpr_write_b32 a107, v117
	v_mul_f64 v[116:117], v[22:23], v[36:37]
	v_mul_f64 v[34:35], v[34:35], v[36:37]
	v_accvgpr_write_b32 a103, v111
	v_mul_f64 v[110:111], v[112:113], v[36:37]
	v_mul_f64 v[36:37], v[124:125], 0
	v_fma_f64 v[22:23], v[38:39], -s[12:13], v[20:21]
	v_accvgpr_write_b32 a109, v97
	v_accvgpr_write_b32 a80, v82
	v_fma_f64 v[2:3], v[40:41], -v[104:105], v[36:37]
	v_accvgpr_write_b32 a108, v96
	v_fma_f64 v[96:97], -v[130:131], v[24:25], v[22:23]
	v_fma_f64 v[22:23], v[40:41], -s[12:13], v[36:37]
	v_accvgpr_write_b32 a81, v83
	v_fma_f64 v[82:83], v[104:105], v[40:41], v[36:37]
	v_fmac_f64_e32 v[36:37], s[12:13], v[40:41]
	v_accvgpr_write_b32 a64, v72
	v_accvgpr_write_b32 a130, v134
	;; [unrolled: 1-line block ×4, first 2 shown]
	v_fma_f64 v[72:73], -v[126:127], s[16:17], v[36:37]
	v_mul_f64 v[36:37], v[38:39], 0
	v_mul_f64 v[28:29], v[38:39], -v[104:105]
	v_fma_f64 v[232:233], v[38:39], -v[104:105], v[20:21]
	v_mul_f64 v[44:45], v[116:117], 0
	v_mul_f64 v[250:251], v[38:39], -s[12:13]
	v_accvgpr_write_b32 a131, v135
	v_mul_f64 v[134:135], v[104:105], v[38:39]
	v_accvgpr_write_b32 a75, v79
	v_fma_f64 v[78:79], v[104:105], v[38:39], v[20:21]
	v_mul_f64 v[254:255], s[12:13], v[38:39]
	v_fmac_f64_e32 v[20:21], s[12:13], v[38:39]
	v_fma_f64 v[38:39], v[142:143], v[128:129], v[36:37]
	v_fmac_f64_e32 v[106:107], 0, v[58:59]
	v_fmac_f64_e32 v[90:91], 0, v[58:59]
	;; [unrolled: 1-line block ×8, first 2 shown]
	v_accvgpr_write_b32 a128, v132
	v_fma_f64 v[108:109], -v[126:127], v[24:25], v[22:23]
	v_fma_f64 v[22:23], v[34:35], -s[12:13], v[44:45]
	v_accvgpr_write_b32 a132, v136
	v_accvgpr_write_b32 a134, v138
	;; [unrolled: 1-line block ×4, first 2 shown]
	v_fma_f64 v[58:59], v[130:131], -v[24:25], v[38:39]
	v_mul_f64 v[38:39], v[40:41], 0
	v_mul_f64 v[32:33], v[40:41], -v[104:105]
	v_accvgpr_write_b32 a129, v133
	v_mul_f64 v[132:133], v[34:35], -v[104:105]
	v_fma_f64 v[242:243], v[34:35], -v[104:105], v[44:45]
	v_mul_f64 v[252:253], v[40:41], -s[12:13]
	v_mul_f64 v[248:249], v[34:35], -s[12:13]
	v_fma_f64 v[100:101], -v[110:111], v[24:25], v[22:23]
	v_accvgpr_write_b32 a133, v137
	v_mul_f64 v[136:137], v[104:105], v[40:41]
	v_accvgpr_write_b32 a135, v139
	v_mul_f64 v[138:139], v[104:105], v[34:35]
	v_accvgpr_write_b32 a79, v81
	v_fma_f64 v[80:81], v[104:105], v[34:35], v[44:45]
	v_accvgpr_write_b32 a61, v65
	v_fma_f64 v[64:65], -v[130:131], s[16:17], v[20:21]
	v_mul_f64 v[22:23], s[12:13], v[40:41]
	v_mul_f64 v[20:21], s[12:13], v[34:35]
	v_fmac_f64_e32 v[44:45], s[12:13], v[34:35]
	v_fma_f64 v[40:41], v[142:143], v[124:125], v[38:39]
	v_mul_f64 v[34:35], v[34:35], 0
	v_fmac_f64_e32 v[102:103], 0, v[62:63]
	v_fmac_f64_e32 v[86:87], 0, v[62:63]
	;; [unrolled: 1-line block ×8, first 2 shown]
	v_fma_f64 v[62:63], v[126:127], -v[24:25], v[40:41]
	v_fma_f64 v[40:41], v[142:143], v[116:117], v[34:35]
	v_fma_f64 v[48:49], s[8:9], v[128:129], v[36:37]
	;; [unrolled: 1-line block ×4, first 2 shown]
	v_fmac_f64_e32 v[232:233], v[24:25], v[130:131]
	v_fmac_f64_e32 v[2:3], v[24:25], v[126:127]
	;; [unrolled: 1-line block ×3, first 2 shown]
	v_fma_f64 v[60:61], v[110:111], -v[24:25], v[40:41]
	v_fmac_f64_e32 v[48:49], v[24:25], v[130:131]
	v_fmac_f64_e32 v[54:55], v[24:25], v[126:127]
	v_fmac_f64_e32 v[52:53], v[24:25], v[110:111]
	v_fma_f64 v[24:25], -v[128:129], v[142:143], v[36:37]
	v_accvgpr_write_b32 a62, v68
	v_fma_f64 v[112:113], v[130:131], -s[16:17], v[24:25]
	v_fma_f64 v[24:25], -v[124:125], v[142:143], v[38:39]
	v_accvgpr_write_b32 a63, v69
	v_fma_f64 v[68:69], -v[110:111], s[16:17], v[44:45]
	v_fma_f64 v[44:45], v[126:127], -s[16:17], v[24:25]
	v_fma_f64 v[24:25], -v[116:117], v[142:143], v[34:35]
	v_accvgpr_write_b32 a84, v88
	v_accvgpr_write_b32 a115, v99
	v_fma_f64 v[40:41], v[110:111], -s[16:17], v[24:25]
	v_accvgpr_write_b32 a85, v89
	v_fma_f64 v[88:89], -v[128:129], s[8:9], v[36:37]
	v_accvgpr_write_b32 a114, v98
	v_fma_f64 v[98:99], -v[116:117], s[8:9], v[34:35]
	v_fma_f64 v[36:37], v[116:117], -v[142:143], v[138:139]
	v_fma_f64 v[24:25], v[128:129], -s[8:9], v[28:29]
	;; [unrolled: 1-line block ×3, first 2 shown]
	v_fmac_f64_e32 v[20:21], v[142:143], v[116:117]
	v_fmac_f64_e32 v[248:249], s[8:9], v[116:117]
	;; [unrolled: 1-line block ×8, first 2 shown]
	v_mul_f64 v[110:111], v[106:107], v[106:107]
	v_fmac_f64_e32 v[110:111], v[94:95], v[94:95]
	v_ldexp_f64 v[0:1], |v[0:1]|, -3
	v_fmac_f64_e32 v[110:111], v[102:103], v[102:103]
	v_fmac_f64_e32 v[228:229], v[0:1], v[110:111]
	v_mul_f64 v[110:111], v[106:107], v[90:91]
	v_fmac_f64_e32 v[110:111], v[94:95], v[76:77]
	v_fmac_f64_e32 v[110:111], v[102:103], v[86:87]
	v_fmac_f64_e32 v[226:227], v[0:1], v[110:111]
	v_mul_f64 v[110:111], v[106:107], v[70:71]
	v_fmac_f64_e32 v[110:111], v[94:95], v[56:57]
	;; [unrolled: 4-line block ×9, first 2 shown]
	v_fmac_f64_e32 v[110:111], v[102:103], v[234:235]
	v_fmac_f64_e32 v[166:167], v[0:1], v[110:111]
	v_mul_f64 v[110:111], v[106:107], v[120:121]
	v_mul_f64 v[106:107], v[106:107], v[92:93]
	v_fmac_f64_e32 v[110:111], v[94:95], v[114:115]
	v_fmac_f64_e32 v[106:107], v[94:95], v[84:85]
	v_accvgpr_read_b32 v94, a155            ;  Reload Reuse
	v_fmac_f64_e32 v[106:107], v[102:103], v[74:75]
	v_accvgpr_read_b32 v95, a154            ;  Reload Reuse
	v_fmac_f64_e32 v[94:95], v[0:1], v[106:107]
	v_accvgpr_write_b32 a155, v94           ;  Reload Reuse
	v_accvgpr_write_b32 a154, v95           ;  Reload Reuse
	v_mul_f64 v[94:95], v[90:91], v[90:91]
	v_fmac_f64_e32 v[94:95], v[76:77], v[76:77]
	v_fmac_f64_e32 v[94:95], v[86:87], v[86:87]
	v_fmac_f64_e32 v[224:225], v[0:1], v[94:95]
	v_mul_f64 v[94:95], v[90:91], v[70:71]
	v_fmac_f64_e32 v[94:95], v[76:77], v[56:57]
	v_fmac_f64_e32 v[94:95], v[86:87], v[66:67]
	v_fmac_f64_e32 v[220:221], v[0:1], v[94:95]
	;; [unrolled: 4-line block ×9, first 2 shown]
	v_mul_f64 v[94:95], v[90:91], v[120:121]
	v_mul_f64 v[90:91], v[90:91], v[92:93]
	v_fmac_f64_e32 v[94:95], v[76:77], v[114:115]
	v_fmac_f64_e32 v[90:91], v[76:77], v[84:85]
	v_mul_f64 v[76:77], v[70:71], v[70:71]
	v_fmac_f64_e32 v[76:77], v[56:57], v[56:57]
	v_fmac_f64_e32 v[76:77], v[66:67], v[66:67]
	v_fmac_f64_e32 v[216:217], v[0:1], v[76:77]
	v_mul_f64 v[76:77], v[70:71], v[50:51]
	v_fmac_f64_e32 v[76:77], v[56:57], v[42:43]
	;; [unrolled: 4-line block ×8, first 2 shown]
	v_fmac_f64_e32 v[76:77], v[66:67], v[234:235]
	v_fmac_f64_e32 v[146:147], v[0:1], v[76:77]
	v_mul_f64 v[76:77], v[70:71], v[120:121]
	v_mul_f64 v[70:71], v[70:71], v[92:93]
	v_fmac_f64_e32 v[76:77], v[56:57], v[114:115]
	v_fmac_f64_e32 v[70:71], v[56:57], v[84:85]
	v_mul_f64 v[56:57], v[50:51], v[50:51]
	v_fmac_f64_e32 v[56:57], v[42:43], v[42:43]
	v_fmac_f64_e32 v[56:57], v[46:47], v[46:47]
	v_fmac_f64_e32 v[204:205], v[0:1], v[56:57]
	v_mul_f64 v[56:57], v[50:51], v[30:31]
	v_fmac_f64_e32 v[56:57], v[42:43], v[18:19]
	v_fmac_f64_e32 v[56:57], v[46:47], v[26:27]
	v_fmac_f64_e32 v[196:197], v[0:1], v[56:57]
	v_mul_f64 v[56:57], v[50:51], v[16:17]
	v_fmac_f64_e32 v[56:57], v[42:43], v[12:13]
	v_fmac_f64_e32 v[56:57], v[46:47], v[14:15]
	v_fmac_f64_e32 v[186:187], v[0:1], v[56:57]
	v_mul_f64 v[56:57], v[50:51], v[10:11]
	v_fmac_f64_e32 v[56:57], v[42:43], v[6:7]
	v_fmac_f64_e32 v[56:57], v[46:47], v[8:9]
	v_fmac_f64_e32 v[176:177], v[0:1], v[56:57]
	v_mul_f64 v[56:57], v[50:51], v[4:5]
	v_fmac_f64_e32 v[56:57], v[42:43], v[244:245]
	v_fmac_f64_e32 v[56:57], v[46:47], v[246:247]
	v_fmac_f64_e32 v[164:165], v[0:1], v[56:57]
	v_mul_f64 v[56:57], v[50:51], v[230:231]
	v_fmac_f64_e32 v[56:57], v[42:43], v[238:239]
	v_fmac_f64_e32 v[76:77], v[66:67], v[118:119]
	v_fmac_f64_e32 v[70:71], v[66:67], v[74:75]
	v_accvgpr_read_b32 v67, a51
	v_fmac_f64_e32 v[56:57], v[46:47], v[240:241]
	v_accvgpr_read_b32 v66, a50
	v_fmac_f64_e32 v[150:151], v[0:1], v[56:57]
	v_mul_f64 v[56:57], v[50:51], v[236:237]
	v_accvgpr_write_b32 a50, v140
	v_fmac_f64_e32 v[56:57], v[42:43], v[122:123]
	v_accvgpr_write_b32 a51, v141
	v_accvgpr_read_b32 v140, a157           ;  Reload Reuse
	v_fmac_f64_e32 v[56:57], v[46:47], v[234:235]
	v_accvgpr_read_b32 v141, a156           ;  Reload Reuse
	v_fmac_f64_e32 v[140:141], v[0:1], v[56:57]
	v_mul_f64 v[56:57], v[50:51], v[120:121]
	v_mul_f64 v[50:51], v[50:51], v[92:93]
	v_fmac_f64_e32 v[56:57], v[42:43], v[114:115]
	v_fmac_f64_e32 v[50:51], v[42:43], v[84:85]
	v_mul_f64 v[42:43], v[30:31], v[30:31]
	v_fmac_f64_e32 v[42:43], v[18:19], v[18:19]
	v_fmac_f64_e32 v[42:43], v[26:27], v[26:27]
	v_fmac_f64_e32 v[190:191], v[0:1], v[42:43]
	v_mul_f64 v[42:43], v[30:31], v[16:17]
	v_fmac_f64_e32 v[42:43], v[18:19], v[12:13]
	;; [unrolled: 4-line block ×4, first 2 shown]
	v_fmac_f64_e32 v[42:43], v[18:19], v[244:245]
	v_fmac_f64_e32 v[144:145], v[0:1], v[94:95]
	;; [unrolled: 1-line block ×4, first 2 shown]
	v_accvgpr_read_b32 v47, a31
	v_fmac_f64_e32 v[42:43], v[26:27], v[246:247]
	v_accvgpr_read_b32 v46, a30
	v_fmac_f64_e32 v[156:157], v[0:1], v[42:43]
	v_mul_f64 v[42:43], v[30:31], v[230:231]
	v_accvgpr_write_b32 a30, v144
	v_fmac_f64_e32 v[42:43], v[18:19], v[238:239]
	v_accvgpr_write_b32 a31, v145
	v_accvgpr_read_b32 v144, a153           ;  Reload Reuse
	v_fmac_f64_e32 v[42:43], v[26:27], v[240:241]
	v_accvgpr_read_b32 v145, a152           ;  Reload Reuse
	v_fma_f64 v[34:35], v[128:129], -v[142:143], v[134:135]
	v_fmac_f64_e32 v[254:255], v[142:143], v[128:129]
	v_fmac_f64_e32 v[250:251], s[8:9], v[128:129]
	;; [unrolled: 1-line block ×3, first 2 shown]
	v_mul_f64 v[42:43], v[30:31], v[236:237]
	v_fmac_f64_e32 v[78:79], s[16:17], v[130:131]
	v_fmac_f64_e32 v[88:89], s[16:17], v[130:131]
	;; [unrolled: 1-line block ×6, first 2 shown]
	v_accvgpr_read_b32 v131, a127
	v_fmac_f64_e32 v[42:43], v[18:19], v[122:123]
	v_accvgpr_read_b32 v130, a126
	v_fmac_f64_e32 v[42:43], v[26:27], v[234:235]
	v_fmac_f64_e32 v[130:131], v[0:1], v[42:43]
	v_mul_f64 v[42:43], v[30:31], v[120:121]
	v_mul_f64 v[30:31], v[30:31], v[92:93]
	v_fmac_f64_e32 v[42:43], v[18:19], v[114:115]
	v_fmac_f64_e32 v[30:31], v[18:19], v[84:85]
	v_mul_f64 v[18:19], v[16:17], v[16:17]
	v_fmac_f64_e32 v[18:19], v[12:13], v[12:13]
	v_fmac_f64_e32 v[18:19], v[14:15], v[14:15]
	v_fmac_f64_e32 v[174:175], v[0:1], v[18:19]
	v_mul_f64 v[18:19], v[16:17], v[10:11]
	v_fmac_f64_e32 v[18:19], v[12:13], v[6:7]
	;; [unrolled: 4-line block ×3, first 2 shown]
	v_fmac_f64_e32 v[18:19], v[14:15], v[246:247]
	v_fmac_f64_e32 v[148:149], v[0:1], v[18:19]
	v_mul_f64 v[18:19], v[16:17], v[230:231]
	v_fma_f64 v[104:105], -v[124:125], s[8:9], v[38:39]
	v_fma_f64 v[38:39], v[124:125], -v[142:143], v[136:137]
	v_accvgpr_read_b32 v137, a133
	v_fmac_f64_e32 v[18:19], v[12:13], v[238:239]
	v_accvgpr_read_b32 v136, a132
	v_fmac_f64_e32 v[18:19], v[14:15], v[240:241]
	v_fmac_f64_e32 v[136:137], v[0:1], v[18:19]
	v_mul_f64 v[18:19], v[16:17], v[236:237]
	v_accvgpr_read_b32 v117, a107
	v_fmac_f64_e32 v[18:19], v[12:13], v[122:123]
	v_accvgpr_read_b32 v116, a106
	v_fmac_f64_e32 v[18:19], v[14:15], v[234:235]
	v_fmac_f64_e32 v[116:117], v[0:1], v[18:19]
	v_mul_f64 v[18:19], v[16:17], v[120:121]
	v_mul_f64 v[16:17], v[16:17], v[92:93]
	v_fmac_f64_e32 v[18:19], v[12:13], v[114:115]
	v_fmac_f64_e32 v[16:17], v[12:13], v[84:85]
	v_mul_f64 v[12:13], v[10:11], v[10:11]
	v_fmac_f64_e32 v[12:13], v[6:7], v[6:7]
	v_fmac_f64_e32 v[12:13], v[8:9], v[8:9]
	v_accvgpr_write_b32 a157, v140          ;  Reload Reuse
	v_fmac_f64_e32 v[152:153], v[0:1], v[12:13]
	v_mul_f64 v[12:13], v[10:11], v[4:5]
	v_accvgpr_write_b32 a156, v141          ;  Reload Reuse
	v_accvgpr_read_b32 v141, a51
	v_fmac_f64_e32 v[12:13], v[6:7], v[244:245]
	v_accvgpr_read_b32 v140, a50
	v_fmac_f64_e32 v[12:13], v[8:9], v[246:247]
	v_fmac_f64_e32 v[140:141], v[0:1], v[12:13]
	v_mul_f64 v[12:13], v[10:11], v[230:231]
	v_accvgpr_read_b32 v129, a125
	v_fmac_f64_e32 v[12:13], v[6:7], v[238:239]
	v_accvgpr_read_b32 v128, a124
	v_fmac_f64_e32 v[12:13], v[8:9], v[240:241]
	v_fmac_f64_e32 v[128:129], v[0:1], v[12:13]
	v_mul_f64 v[12:13], v[10:11], v[236:237]
	;; [unrolled: 6-line block ×3, first 2 shown]
	v_mul_f64 v[10:11], v[10:11], v[92:93]
	v_fmac_f64_e32 v[12:13], v[6:7], v[114:115]
	v_fmac_f64_e32 v[10:11], v[6:7], v[84:85]
	v_mul_f64 v[6:7], v[4:5], v[4:5]
	v_accvgpr_read_b32 v139, a135
	v_fmac_f64_e32 v[6:7], v[244:245], v[244:245]
	v_accvgpr_read_b32 v138, a134
	v_fmac_f64_e32 v[6:7], v[246:247], v[246:247]
	v_fmac_f64_e32 v[138:139], v[0:1], v[6:7]
	v_mul_f64 v[6:7], v[4:5], v[230:231]
	v_fma_f64 v[32:33], v[124:125], -s[8:9], v[32:33]
	v_fmac_f64_e32 v[22:23], v[142:143], v[124:125]
	v_fmac_f64_e32 v[252:253], s[8:9], v[124:125]
	v_accvgpr_read_b32 v125, a111
	v_fmac_f64_e32 v[6:7], v[244:245], v[238:239]
	v_accvgpr_read_b32 v124, a110
	v_fmac_f64_e32 v[6:7], v[246:247], v[240:241]
	v_fmac_f64_e32 v[124:125], v[0:1], v[6:7]
	v_mul_f64 v[6:7], v[4:5], v[236:237]
	v_fmac_f64_e32 v[90:91], v[86:87], v[74:75]
	v_accvgpr_read_b32 v87, a71
	v_fmac_f64_e32 v[6:7], v[244:245], v[122:123]
	v_accvgpr_read_b32 v86, a70
	v_fmac_f64_e32 v[6:7], v[246:247], v[234:235]
	v_fmac_f64_e32 v[86:87], v[0:1], v[6:7]
	v_mul_f64 v[6:7], v[4:5], v[120:121]
	v_mul_f64 v[4:5], v[4:5], v[92:93]
	v_fmac_f64_e32 v[18:19], v[14:15], v[118:119]
	v_fmac_f64_e32 v[16:17], v[14:15], v[74:75]
	v_accvgpr_read_b32 v15, a11
	v_fmac_f64_e32 v[4:5], v[244:245], v[84:85]
	v_accvgpr_read_b32 v14, a10
	v_fmac_f64_e32 v[4:5], v[246:247], v[74:75]
	v_fmac_f64_e32 v[14:15], v[0:1], v[4:5]
	v_mul_f64 v[4:5], v[230:231], v[230:231]
	v_fmac_f64_e32 v[110:111], v[102:103], v[118:119]
	v_accvgpr_read_b32 v107, a95
	v_fmac_f64_e32 v[4:5], v[238:239], v[238:239]
	v_fmac_f64_e32 v[154:155], v[0:1], v[110:111]
	v_accvgpr_read_b32 v111, a103
	v_accvgpr_read_b32 v106, a94
	v_fmac_f64_e32 v[4:5], v[240:241], v[240:241]
	v_accvgpr_read_b32 v110, a102
	v_fmac_f64_e32 v[106:107], v[0:1], v[4:5]
	v_mul_f64 v[4:5], v[230:231], v[236:237]
	v_fmac_f64_e32 v[110:111], v[0:1], v[70:71]
	v_accvgpr_read_b32 v71, a57
	v_fmac_f64_e32 v[4:5], v[238:239], v[122:123]
	v_accvgpr_read_b32 v70, a56
	v_fmac_f64_e32 v[4:5], v[240:241], v[234:235]
	v_fmac_f64_e32 v[82:83], s[16:17], v[126:127]
	;; [unrolled: 1-line block ×7, first 2 shown]
	v_accvgpr_read_b32 v127, a117
	v_fmac_f64_e32 v[30:31], v[26:27], v[74:75]
	v_fmac_f64_e32 v[70:71], v[0:1], v[4:5]
	v_mul_f64 v[4:5], v[230:231], v[120:121]
	v_accvgpr_read_b32 v126, a116
	v_fmac_f64_e32 v[66:67], v[0:1], v[30:31]
	v_accvgpr_read_b32 v31, a19
	v_fmac_f64_e32 v[4:5], v[238:239], v[114:115]
	v_fmac_f64_e32 v[126:127], v[0:1], v[56:57]
	v_accvgpr_read_b32 v57, a47
	v_accvgpr_read_b32 v30, a18
	v_fmac_f64_e32 v[4:5], v[240:241], v[118:119]
	v_accvgpr_read_b32 v133, a129
	v_accvgpr_read_b32 v56, a46
	v_fmac_f64_e32 v[12:13], v[8:9], v[118:119]
	v_fmac_f64_e32 v[30:31], v[0:1], v[4:5]
	v_mul_f64 v[4:5], v[230:231], v[92:93]
	v_accvgpr_read_b32 v132, a128
	v_fmac_f64_e32 v[56:57], v[0:1], v[12:13]
	v_accvgpr_read_b32 v13, a9
	v_fmac_f64_e32 v[4:5], v[238:239], v[84:85]
	v_fmac_f64_e32 v[132:133], v[0:1], v[90:91]
	v_accvgpr_read_b32 v91, a77
	v_accvgpr_read_b32 v12, a8
	v_fmac_f64_e32 v[4:5], v[240:241], v[74:75]
	v_accvgpr_read_b32 v135, a131
	v_accvgpr_read_b32 v90, a76
	v_fmac_f64_e32 v[12:13], v[0:1], v[4:5]
	v_mul_f64 v[4:5], v[236:237], v[236:237]
	v_accvgpr_read_b32 v134, a130
	v_fmac_f64_e32 v[90:91], v[0:1], v[50:51]
	v_accvgpr_read_b32 v51, a43
	v_fmac_f64_e32 v[4:5], v[122:123], v[122:123]
	v_fmac_f64_e32 v[134:135], v[0:1], v[76:77]
	v_accvgpr_read_b32 v77, a67
	v_accvgpr_read_b32 v50, a42
	v_fmac_f64_e32 v[4:5], v[234:235], v[234:235]
	v_accvgpr_read_b32 v76, a66
	v_fmac_f64_e32 v[50:51], v[0:1], v[4:5]
	v_mul_f64 v[4:5], v[236:237], v[120:121]
	v_fmac_f64_e32 v[76:77], v[0:1], v[18:19]
	v_accvgpr_read_b32 v19, a15
	v_fmac_f64_e32 v[4:5], v[122:123], v[114:115]
	v_fmac_f64_e32 v[42:43], v[26:27], v[118:119]
	v_accvgpr_read_b32 v27, a17
	v_accvgpr_read_b32 v18, a14
	v_fmac_f64_e32 v[4:5], v[234:235], v[118:119]
	v_accvgpr_read_b32 v103, a91
	v_accvgpr_read_b32 v26, a16
	v_fmac_f64_e32 v[10:11], v[8:9], v[74:75]
	v_fmac_f64_e32 v[18:19], v[0:1], v[4:5]
	v_mul_f64 v[4:5], v[236:237], v[92:93]
	v_accvgpr_read_b32 v102, a90
	v_fmac_f64_e32 v[26:27], v[0:1], v[10:11]
	v_accvgpr_read_b32 v11, a7
	v_fmac_f64_e32 v[4:5], v[122:123], v[84:85]
	v_fmac_f64_e32 v[102:103], v[0:1], v[42:43]
	v_accvgpr_read_b32 v43, a27
	v_accvgpr_read_b32 v10, a6
	v_fmac_f64_e32 v[4:5], v[234:235], v[74:75]
	v_accvgpr_read_b32 v42, a26
	v_fmac_f64_e32 v[10:11], v[0:1], v[4:5]
	v_mul_f64 v[4:5], v[120:121], v[120:121]
	v_fmac_f64_e32 v[42:43], v[0:1], v[16:17]
	v_accvgpr_read_b32 v17, a13
	v_fmac_f64_e32 v[4:5], v[114:115], v[114:115]
	v_accvgpr_read_b32 v16, a12
	v_fmac_f64_e32 v[4:5], v[118:119], v[118:119]
	v_fmac_f64_e32 v[16:17], v[0:1], v[4:5]
	v_mul_f64 v[4:5], v[120:121], v[92:93]
	v_accvgpr_read_b32 v9, a5
	v_fmac_f64_e32 v[4:5], v[114:115], v[84:85]
	v_accvgpr_read_b32 v8, a4
	v_fmac_f64_e32 v[6:7], v[244:245], v[114:115]
	v_fmac_f64_e32 v[4:5], v[118:119], v[74:75]
	;; [unrolled: 1-line block ×4, first 2 shown]
	v_mul_f64 v[4:5], v[92:93], v[92:93]
	v_fmac_f64_e32 v[46:47], v[0:1], v[6:7]
	v_accvgpr_read_b32 v7, a3
	v_fmac_f64_e32 v[4:5], v[84:85], v[84:85]
	v_accvgpr_read_b32 v6, a2
	v_fmac_f64_e32 v[4:5], v[74:75], v[74:75]
	v_fmac_f64_e32 v[6:7], v[0:1], v[4:5]
	v_mul_f64 v[4:5], v[2:3], v[2:3]
	v_fmac_f64_e32 v[4:5], v[232:233], v[232:233]
	v_fmac_f64_e32 v[4:5], v[242:243], v[242:243]
	v_fmac_f64_e32 v[228:229], v[0:1], v[4:5]
	v_mul_f64 v[4:5], v[2:3], v[108:109]
	v_fmac_f64_e32 v[4:5], v[232:233], v[96:97]
	;; [unrolled: 4-line block ×10, first 2 shown]
	v_fmac_f64_e32 v[4:5], v[242:243], v[28:29]
	v_fmac_f64_e32 v[166:167], v[0:1], v[4:5]
	v_mul_f64 v[4:5], v[2:3], v[22:23]
	v_mul_f64 v[2:3], v[2:3], v[252:253]
	v_accvgpr_read_b32 v114, a155           ;  Reload Reuse
	v_fmac_f64_e32 v[2:3], v[232:233], v[250:251]
	v_accvgpr_read_b32 v115, a154           ;  Reload Reuse
	v_fmac_f64_e32 v[2:3], v[242:243], v[248:249]
	v_fmac_f64_e32 v[114:115], v[0:1], v[2:3]
	v_mul_f64 v[2:3], v[108:109], v[108:109]
	v_fmac_f64_e32 v[2:3], v[96:97], v[96:97]
	v_fmac_f64_e32 v[2:3], v[100:101], v[100:101]
	v_fmac_f64_e32 v[224:225], v[0:1], v[2:3]
	v_mul_f64 v[2:3], v[108:109], v[82:83]
	v_fmac_f64_e32 v[2:3], v[96:97], v[78:79]
	;; [unrolled: 4-line block ×9, first 2 shown]
	v_fmac_f64_e32 v[2:3], v[100:101], v[28:29]
	v_accvgpr_write_b32 a153, v144          ;  Reload Reuse
	v_fmac_f64_e32 v[158:159], v[0:1], v[2:3]
	v_mul_f64 v[2:3], v[108:109], v[22:23]
	v_accvgpr_write_b32 a152, v145          ;  Reload Reuse
	v_accvgpr_read_b32 v145, a31
	v_fmac_f64_e32 v[2:3], v[96:97], v[254:255]
	v_accvgpr_read_b32 v144, a30
	v_fmac_f64_e32 v[2:3], v[100:101], v[20:21]
	v_fmac_f64_e32 v[144:145], v[0:1], v[2:3]
	v_mul_f64 v[2:3], v[108:109], v[252:253]
	v_fmac_f64_e32 v[2:3], v[96:97], v[250:251]
	v_fmac_f64_e32 v[2:3], v[100:101], v[248:249]
	v_fmac_f64_e32 v[132:133], v[0:1], v[2:3]
	v_mul_f64 v[2:3], v[82:83], v[82:83]
	v_fmac_f64_e32 v[2:3], v[78:79], v[78:79]
	;; [unrolled: 4-line block ×17, first 2 shown]
	v_fmac_f64_e32 v[4:5], v[232:233], v[254:255]
	v_fmac_f64_e32 v[2:3], v[68:69], v[36:37]
	;; [unrolled: 1-line block ×4, first 2 shown]
	v_mul_f64 v[2:3], v[72:73], v[32:33]
	v_fmac_f64_e32 v[154:155], v[0:1], v[4:5]
	v_accvgpr_read_b32 v4, a157             ;  Reload Reuse
	v_fmac_f64_e32 v[2:3], v[64:65], v[24:25]
	v_accvgpr_read_b32 v5, a156             ;  Reload Reuse
	v_fmac_f64_e32 v[2:3], v[68:69], v[28:29]
	v_fmac_f64_e32 v[4:5], v[0:1], v[2:3]
	v_mul_f64 v[2:3], v[72:73], v[22:23]
	v_fmac_f64_e32 v[2:3], v[64:65], v[254:255]
	v_fmac_f64_e32 v[2:3], v[68:69], v[20:21]
	v_fmac_f64_e32 v[126:127], v[0:1], v[2:3]
	v_mul_f64 v[2:3], v[72:73], v[252:253]
	v_fmac_f64_e32 v[2:3], v[64:65], v[250:251]
	;; [unrolled: 4-line block ×6, first 2 shown]
	v_fmac_f64_e32 v[2:3], v[60:61], v[98:99]
	v_fmac_f64_e32 v[156:157], v[0:1], v[2:3]
	v_mul_f64 v[2:3], v[62:63], v[38:39]
	v_accvgpr_read_b32 v100, a153           ;  Reload Reuse
	v_fmac_f64_e32 v[2:3], v[58:59], v[34:35]
	v_accvgpr_read_b32 v101, a152           ;  Reload Reuse
	v_fmac_f64_e32 v[2:3], v[60:61], v[36:37]
	v_fmac_f64_e32 v[100:101], v[0:1], v[2:3]
	v_mul_f64 v[2:3], v[62:63], v[32:33]
	v_fmac_f64_e32 v[2:3], v[58:59], v[24:25]
	v_fmac_f64_e32 v[2:3], v[60:61], v[28:29]
	v_fmac_f64_e32 v[130:131], v[0:1], v[2:3]
	v_mul_f64 v[2:3], v[62:63], v[22:23]
	v_fmac_f64_e32 v[2:3], v[58:59], v[254:255]
	;; [unrolled: 4-line block ×31, first 2 shown]
	v_accvgpr_read_b32 v92, a96
	v_accvgpr_read_b32 v85, a83
	;; [unrolled: 1-line block ×24, first 2 shown]
	v_fmac_f64_e32 v[2:3], v[248:249], v[248:249]
	v_accvgpr_read_b32 v93, a97
	v_accvgpr_read_b32 v84, a82
	;; [unrolled: 1-line block ×24, first 2 shown]
	v_fmac_f64_e32 v[6:7], v[0:1], v[2:3]
	s_mov_b64 s[18:19], 0
	s_and_b64 vcc, exec, s[0:1]
	s_mov_b64 s[16:17], s[6:7]
	s_cbranch_vccz .LBB2_4
; %bb.5:                                ;   in Loop: Header=BB2_3 Depth=2
	s_mov_b64 s[0:1], 0
	s_and_b64 vcc, exec, s[14:15]
	s_cbranch_vccnz .LBB2_7
; %bb.6:                                ;   in Loop: Header=BB2_3 Depth=2
	s_mov_b64 s[12:13], s[6:7]
	s_branch .LBB2_3
.LBB2_7:                                ;   in Loop: Header=BB2_2 Depth=1
	s_and_b64 vcc, exec, s[10:11]
	s_cbranch_vccnz .LBB2_9
; %bb.8:                                ;   in Loop: Header=BB2_2 Depth=1
	s_mov_b64 s[8:9], s[6:7]
	s_branch .LBB2_2
.LBB2_9:
	v_add_f64 v[0:1], v[228:229], 0
	v_add_f64 v[0:1], v[226:227], v[0:1]
	;; [unrolled: 1-line block ×154, first 2 shown]
	v_accvgpr_read_b32 v5, a1
	v_add_f64 v[2:3], v[6:7], v[2:3]
	v_accvgpr_read_b32 v4, a0
	v_add_f64 v[0:1], v[2:3], v[0:1]
	v_mov_b32_e32 v3, s25
	v_add_co_u32_e32 v2, vcc, s24, v4
	v_addc_co_u32_e32 v3, vcc, v3, v5, vcc
	global_store_dwordx2 v[2:3], v[0:1], off
.LBB2_10:
	s_endpgm
	.section	.rodata,"a",@progbits
	.p2align	6, 0x0
	.amdhsa_kernel _ZN4RAJA6policy3hip4impl18forallp_hip_kernelINS1_8hip_execINS_17iteration_mapping6DirectENS_3hip11IndexGlobalILNS_9named_dimE0ELi256ELi0EEENS7_40AvoidDeviceMaxThreadOccupancyConcretizerINS7_34FractionOffsetOccupancyConcretizerINS_8FractionImLm1ELm1EEELln1EEEEELb1EEENS_9Iterators16numeric_iteratorIllPlEEZN8rajaperf4apps6EDGE3D17runHipVariantImplILm256EEEvNSM_9VariantIDEEUllE0_lNS_4expt15ForallParamPackIJEEES6_SA_TnNSt9enable_ifIXaasr3std10is_base_ofINS5_10DirectBaseET4_EE5valuegtsrT5_10block_sizeLi0EEmE4typeELm256EEEvT1_T0_T2_T3_
		.amdhsa_group_segment_fixed_size 0
		.amdhsa_private_segment_fixed_size 0
		.amdhsa_kernarg_size 220
		.amdhsa_user_sgpr_count 6
		.amdhsa_user_sgpr_private_segment_buffer 1
		.amdhsa_user_sgpr_dispatch_ptr 0
		.amdhsa_user_sgpr_queue_ptr 0
		.amdhsa_user_sgpr_kernarg_segment_ptr 1
		.amdhsa_user_sgpr_dispatch_id 0
		.amdhsa_user_sgpr_flat_scratch_init 0
		.amdhsa_user_sgpr_kernarg_preload_length 0
		.amdhsa_user_sgpr_kernarg_preload_offset 0
		.amdhsa_user_sgpr_private_segment_size 0
		.amdhsa_uses_dynamic_stack 0
		.amdhsa_system_sgpr_private_segment_wavefront_offset 0
		.amdhsa_system_sgpr_workgroup_id_x 1
		.amdhsa_system_sgpr_workgroup_id_y 0
		.amdhsa_system_sgpr_workgroup_id_z 0
		.amdhsa_system_sgpr_workgroup_info 0
		.amdhsa_system_vgpr_workitem_id 0
		.amdhsa_next_free_vgpr 414
		.amdhsa_next_free_sgpr 52
		.amdhsa_accum_offset 256
		.amdhsa_reserve_vcc 1
		.amdhsa_reserve_flat_scratch 0
		.amdhsa_float_round_mode_32 0
		.amdhsa_float_round_mode_16_64 0
		.amdhsa_float_denorm_mode_32 3
		.amdhsa_float_denorm_mode_16_64 3
		.amdhsa_dx10_clamp 1
		.amdhsa_ieee_mode 1
		.amdhsa_fp16_overflow 0
		.amdhsa_tg_split 0
		.amdhsa_exception_fp_ieee_invalid_op 0
		.amdhsa_exception_fp_denorm_src 0
		.amdhsa_exception_fp_ieee_div_zero 0
		.amdhsa_exception_fp_ieee_overflow 0
		.amdhsa_exception_fp_ieee_underflow 0
		.amdhsa_exception_fp_ieee_inexact 0
		.amdhsa_exception_int_div_zero 0
	.end_amdhsa_kernel
	.section	.text._ZN4RAJA6policy3hip4impl18forallp_hip_kernelINS1_8hip_execINS_17iteration_mapping6DirectENS_3hip11IndexGlobalILNS_9named_dimE0ELi256ELi0EEENS7_40AvoidDeviceMaxThreadOccupancyConcretizerINS7_34FractionOffsetOccupancyConcretizerINS_8FractionImLm1ELm1EEELln1EEEEELb1EEENS_9Iterators16numeric_iteratorIllPlEEZN8rajaperf4apps6EDGE3D17runHipVariantImplILm256EEEvNSM_9VariantIDEEUllE0_lNS_4expt15ForallParamPackIJEEES6_SA_TnNSt9enable_ifIXaasr3std10is_base_ofINS5_10DirectBaseET4_EE5valuegtsrT5_10block_sizeLi0EEmE4typeELm256EEEvT1_T0_T2_T3_,"axG",@progbits,_ZN4RAJA6policy3hip4impl18forallp_hip_kernelINS1_8hip_execINS_17iteration_mapping6DirectENS_3hip11IndexGlobalILNS_9named_dimE0ELi256ELi0EEENS7_40AvoidDeviceMaxThreadOccupancyConcretizerINS7_34FractionOffsetOccupancyConcretizerINS_8FractionImLm1ELm1EEELln1EEEEELb1EEENS_9Iterators16numeric_iteratorIllPlEEZN8rajaperf4apps6EDGE3D17runHipVariantImplILm256EEEvNSM_9VariantIDEEUllE0_lNS_4expt15ForallParamPackIJEEES6_SA_TnNSt9enable_ifIXaasr3std10is_base_ofINS5_10DirectBaseET4_EE5valuegtsrT5_10block_sizeLi0EEmE4typeELm256EEEvT1_T0_T2_T3_,comdat
.Lfunc_end2:
	.size	_ZN4RAJA6policy3hip4impl18forallp_hip_kernelINS1_8hip_execINS_17iteration_mapping6DirectENS_3hip11IndexGlobalILNS_9named_dimE0ELi256ELi0EEENS7_40AvoidDeviceMaxThreadOccupancyConcretizerINS7_34FractionOffsetOccupancyConcretizerINS_8FractionImLm1ELm1EEELln1EEEEELb1EEENS_9Iterators16numeric_iteratorIllPlEEZN8rajaperf4apps6EDGE3D17runHipVariantImplILm256EEEvNSM_9VariantIDEEUllE0_lNS_4expt15ForallParamPackIJEEES6_SA_TnNSt9enable_ifIXaasr3std10is_base_ofINS5_10DirectBaseET4_EE5valuegtsrT5_10block_sizeLi0EEmE4typeELm256EEEvT1_T0_T2_T3_, .Lfunc_end2-_ZN4RAJA6policy3hip4impl18forallp_hip_kernelINS1_8hip_execINS_17iteration_mapping6DirectENS_3hip11IndexGlobalILNS_9named_dimE0ELi256ELi0EEENS7_40AvoidDeviceMaxThreadOccupancyConcretizerINS7_34FractionOffsetOccupancyConcretizerINS_8FractionImLm1ELm1EEELln1EEEEELb1EEENS_9Iterators16numeric_iteratorIllPlEEZN8rajaperf4apps6EDGE3D17runHipVariantImplILm256EEEvNSM_9VariantIDEEUllE0_lNS_4expt15ForallParamPackIJEEES6_SA_TnNSt9enable_ifIXaasr3std10is_base_ofINS5_10DirectBaseET4_EE5valuegtsrT5_10block_sizeLi0EEmE4typeELm256EEEvT1_T0_T2_T3_
                                        ; -- End function
	.section	.AMDGPU.csdata,"",@progbits
; Kernel info:
; codeLenInByte = 10644
; NumSgprs: 56
; NumVgprs: 256
; NumAgprs: 158
; TotalNumVgprs: 414
; ScratchSize: 0
; MemoryBound: 0
; FloatMode: 240
; IeeeMode: 1
; LDSByteSize: 0 bytes/workgroup (compile time only)
; SGPRBlocks: 6
; VGPRBlocks: 51
; NumSGPRsForWavesPerEU: 56
; NumVGPRsForWavesPerEU: 414
; AccumOffset: 256
; Occupancy: 1
; WaveLimiterHint : 0
; COMPUTE_PGM_RSRC2:SCRATCH_EN: 0
; COMPUTE_PGM_RSRC2:USER_SGPR: 6
; COMPUTE_PGM_RSRC2:TRAP_HANDLER: 0
; COMPUTE_PGM_RSRC2:TGID_X_EN: 1
; COMPUTE_PGM_RSRC2:TGID_Y_EN: 0
; COMPUTE_PGM_RSRC2:TGID_Z_EN: 0
; COMPUTE_PGM_RSRC2:TIDIG_COMP_CNT: 0
; COMPUTE_PGM_RSRC3_GFX90A:ACCUM_OFFSET: 63
; COMPUTE_PGM_RSRC3_GFX90A:TG_SPLIT: 0
	.text
	.p2alignl 6, 3212836864
	.fill 256, 4, 3212836864
	.type	__hip_cuid_ca5b36da604237a3,@object ; @__hip_cuid_ca5b36da604237a3
	.section	.bss,"aw",@nobits
	.globl	__hip_cuid_ca5b36da604237a3
__hip_cuid_ca5b36da604237a3:
	.byte	0                               ; 0x0
	.size	__hip_cuid_ca5b36da604237a3, 1

	.ident	"AMD clang version 19.0.0git (https://github.com/RadeonOpenCompute/llvm-project roc-6.4.0 25133 c7fe45cf4b819c5991fe208aaa96edf142730f1d)"
	.section	".note.GNU-stack","",@progbits
	.addrsig
	.addrsig_sym __hip_cuid_ca5b36da604237a3
	.amdgpu_metadata
---
amdhsa.kernels:
  - .agpr_count:     160
    .args:
      - .address_space:  global
        .offset:         0
        .size:           8
        .value_kind:     global_buffer
      - .address_space:  global
        .offset:         8
        .size:           8
        .value_kind:     global_buffer
      - .address_space:  global
        .offset:         16
        .size:           8
        .value_kind:     global_buffer
      - .address_space:  global
        .offset:         24
        .size:           8
        .value_kind:     global_buffer
      - .address_space:  global
        .offset:         32
        .size:           8
        .value_kind:     global_buffer
      - .address_space:  global
        .offset:         40
        .size:           8
        .value_kind:     global_buffer
      - .address_space:  global
        .offset:         48
        .size:           8
        .value_kind:     global_buffer
      - .address_space:  global
        .offset:         56
        .size:           8
        .value_kind:     global_buffer
      - .address_space:  global
        .offset:         64
        .size:           8
        .value_kind:     global_buffer
      - .address_space:  global
        .offset:         72
        .size:           8
        .value_kind:     global_buffer
      - .address_space:  global
        .offset:         80
        .size:           8
        .value_kind:     global_buffer
      - .address_space:  global
        .offset:         88
        .size:           8
        .value_kind:     global_buffer
      - .address_space:  global
        .offset:         96
        .size:           8
        .value_kind:     global_buffer
      - .address_space:  global
        .offset:         104
        .size:           8
        .value_kind:     global_buffer
      - .address_space:  global
        .offset:         112
        .size:           8
        .value_kind:     global_buffer
      - .address_space:  global
        .offset:         120
        .size:           8
        .value_kind:     global_buffer
      - .address_space:  global
        .offset:         128
        .size:           8
        .value_kind:     global_buffer
      - .address_space:  global
        .offset:         136
        .size:           8
        .value_kind:     global_buffer
      - .address_space:  global
        .offset:         144
        .size:           8
        .value_kind:     global_buffer
      - .address_space:  global
        .offset:         152
        .size:           8
        .value_kind:     global_buffer
      - .address_space:  global
        .offset:         160
        .size:           8
        .value_kind:     global_buffer
      - .address_space:  global
        .offset:         168
        .size:           8
        .value_kind:     global_buffer
      - .address_space:  global
        .offset:         176
        .size:           8
        .value_kind:     global_buffer
      - .address_space:  global
        .offset:         184
        .size:           8
        .value_kind:     global_buffer
      - .address_space:  global
        .offset:         192
        .size:           8
        .value_kind:     global_buffer
      - .offset:         200
        .size:           8
        .value_kind:     by_value
      - .offset:         208
        .size:           8
        .value_kind:     by_value
    .group_segment_fixed_size: 0
    .kernarg_segment_align: 8
    .kernarg_segment_size: 216
    .language:       OpenCL C
    .language_version:
      - 2
      - 0
    .max_flat_workgroup_size: 256
    .name:           _ZN8rajaperf4apps6edge3dILm256EEEvPdS2_S2_S2_S2_S2_S2_S2_S2_S2_S2_S2_S2_S2_S2_S2_S2_S2_S2_S2_S2_S2_S2_S2_S2_ll
    .private_segment_fixed_size: 0
    .sgpr_count:     72
    .sgpr_spill_count: 0
    .symbol:         _ZN8rajaperf4apps6edge3dILm256EEEvPdS2_S2_S2_S2_S2_S2_S2_S2_S2_S2_S2_S2_S2_S2_S2_S2_S2_S2_S2_S2_S2_S2_S2_S2_ll.kd
    .uniform_work_group_size: 1
    .uses_dynamic_stack: false
    .vgpr_count:     416
    .vgpr_spill_count: 14
    .wavefront_size: 64
  - .agpr_count:     158
    .args:
      - .offset:         0
        .size:           8
        .value_kind:     by_value
      - .offset:         8
        .size:           8
        .value_kind:     by_value
      - .offset:         16
        .size:           200
        .value_kind:     by_value
    .group_segment_fixed_size: 0
    .kernarg_segment_align: 8
    .kernarg_segment_size: 216
    .language:       OpenCL C
    .language_version:
      - 2
      - 0
    .max_flat_workgroup_size: 256
    .name:           _ZN8rajaperf17lambda_hip_forallILm256EZNS_4apps6EDGE3D17runHipVariantImplILm256EEEvNS_9VariantIDEEUllE_EEvllT0_
    .private_segment_fixed_size: 0
    .sgpr_count:     56
    .sgpr_spill_count: 0
    .symbol:         _ZN8rajaperf17lambda_hip_forallILm256EZNS_4apps6EDGE3D17runHipVariantImplILm256EEEvNS_9VariantIDEEUllE_EEvllT0_.kd
    .uniform_work_group_size: 1
    .uses_dynamic_stack: false
    .vgpr_count:     414
    .vgpr_spill_count: 12
    .wavefront_size: 64
  - .agpr_count:     158
    .args:
      - .offset:         0
        .size:           200
        .value_kind:     by_value
      - .offset:         200
        .size:           8
        .value_kind:     by_value
      - .offset:         208
        .size:           8
        .value_kind:     by_value
      - .offset:         216
        .size:           1
        .value_kind:     by_value
    .group_segment_fixed_size: 0
    .kernarg_segment_align: 8
    .kernarg_segment_size: 220
    .language:       OpenCL C
    .language_version:
      - 2
      - 0
    .max_flat_workgroup_size: 256
    .name:           _ZN4RAJA6policy3hip4impl18forallp_hip_kernelINS1_8hip_execINS_17iteration_mapping6DirectENS_3hip11IndexGlobalILNS_9named_dimE0ELi256ELi0EEENS7_40AvoidDeviceMaxThreadOccupancyConcretizerINS7_34FractionOffsetOccupancyConcretizerINS_8FractionImLm1ELm1EEELln1EEEEELb1EEENS_9Iterators16numeric_iteratorIllPlEEZN8rajaperf4apps6EDGE3D17runHipVariantImplILm256EEEvNSM_9VariantIDEEUllE0_lNS_4expt15ForallParamPackIJEEES6_SA_TnNSt9enable_ifIXaasr3std10is_base_ofINS5_10DirectBaseET4_EE5valuegtsrT5_10block_sizeLi0EEmE4typeELm256EEEvT1_T0_T2_T3_
    .private_segment_fixed_size: 0
    .sgpr_count:     56
    .sgpr_spill_count: 0
    .symbol:         _ZN4RAJA6policy3hip4impl18forallp_hip_kernelINS1_8hip_execINS_17iteration_mapping6DirectENS_3hip11IndexGlobalILNS_9named_dimE0ELi256ELi0EEENS7_40AvoidDeviceMaxThreadOccupancyConcretizerINS7_34FractionOffsetOccupancyConcretizerINS_8FractionImLm1ELm1EEELln1EEEEELb1EEENS_9Iterators16numeric_iteratorIllPlEEZN8rajaperf4apps6EDGE3D17runHipVariantImplILm256EEEvNSM_9VariantIDEEUllE0_lNS_4expt15ForallParamPackIJEEES6_SA_TnNSt9enable_ifIXaasr3std10is_base_ofINS5_10DirectBaseET4_EE5valuegtsrT5_10block_sizeLi0EEmE4typeELm256EEEvT1_T0_T2_T3_.kd
    .uniform_work_group_size: 1
    .uses_dynamic_stack: false
    .vgpr_count:     414
    .vgpr_spill_count: 12
    .wavefront_size: 64
amdhsa.target:   amdgcn-amd-amdhsa--gfx90a
amdhsa.version:
  - 1
  - 2
...

	.end_amdgpu_metadata
